;; amdgpu-corpus repo=ROCm/rocFFT kind=compiled arch=gfx1030 opt=O3
	.text
	.amdgcn_target "amdgcn-amd-amdhsa--gfx1030"
	.amdhsa_code_object_version 6
	.protected	bluestein_single_back_len195_dim1_dp_op_CI_CI ; -- Begin function bluestein_single_back_len195_dim1_dp_op_CI_CI
	.globl	bluestein_single_back_len195_dim1_dp_op_CI_CI
	.p2align	8
	.type	bluestein_single_back_len195_dim1_dp_op_CI_CI,@function
bluestein_single_back_len195_dim1_dp_op_CI_CI: ; @bluestein_single_back_len195_dim1_dp_op_CI_CI
; %bb.0:
	s_load_dwordx4 s[8:11], s[4:5], 0x28
	v_mul_u32_u24_e32 v1, 0x13b2, v0
	s_mov_b64 s[50:51], s[2:3]
	s_mov_b64 s[48:49], s[0:1]
	v_mov_b32_e32 v5, 0
	s_add_u32 s48, s48, s7
	v_lshrrev_b32_e32 v57, 16, v1
	s_addc_u32 s49, s49, 0
	s_mov_b32 s0, exec_lo
	v_lshl_add_u32 v4, s6, 2, v57
	s_waitcnt lgkmcnt(0)
	v_cmpx_gt_u64_e64 s[8:9], v[4:5]
	s_cbranch_execz .LBB0_15
; %bb.1:
	s_clause 0x1
	s_load_dwordx4 s[0:3], s[4:5], 0x18
	s_load_dwordx2 s[6:7], s[4:5], 0x0
	v_mul_lo_u16 v1, v57, 13
	v_mov_b32_e32 v5, v4
	v_sub_nc_u16 v56, v0, v1
	v_and_b32_e32 v236, 0xffff, v56
	v_lshlrev_b32_e32 v245, 4, v236
	s_waitcnt lgkmcnt(0)
	s_load_dwordx4 s[12:15], s[0:1], 0x0
	buffer_store_dword v5, off, s[48:51], 0 offset:48 ; 4-byte Folded Spill
	buffer_store_dword v6, off, s[48:51], 0 offset:52 ; 4-byte Folded Spill
	v_add_co_u32 v232, s0, s6, v245
	v_add_co_ci_u32_e64 v233, null, s7, 0, s0
	s_clause 0x1
	global_load_dwordx4 v[26:29], v245, s[6:7]
	global_load_dwordx4 v[30:33], v245, s[6:7] offset:240
	s_waitcnt lgkmcnt(0)
	v_mad_u64_u32 v[0:1], null, s14, v4, 0
	v_mad_u64_u32 v[2:3], null, s12, v236, 0
	s_mul_i32 s0, s13, 0xf0
	s_mul_hi_u32 s1, s12, 0xf0
	s_mul_i32 s8, s12, 0xf0
	s_add_i32 s1, s1, s0
	v_mad_u64_u32 v[4:5], null, s15, v4, v[1:2]
	v_mad_u64_u32 v[5:6], null, s13, v236, v[3:4]
	v_mov_b32_e32 v1, v4
	s_clause 0x6
	global_load_dwordx4 v[40:43], v245, s[6:7] offset:480
	global_load_dwordx4 v[148:151], v245, s[6:7] offset:720
	;; [unrolled: 1-line block ×7, first 2 shown]
	v_and_b32_e32 v4, 3, v57
	v_lshlrev_b64 v[0:1], 4, v[0:1]
	v_mov_b32_e32 v3, v5
	v_mul_u32_u24_e32 v4, 0xc3, v4
	v_lshlrev_b64 v[2:3], 4, v[2:3]
	v_add_co_u32 v54, vcc_lo, s10, v0
	v_add_co_ci_u32_e32 v55, vcc_lo, s11, v1, vcc_lo
	v_lshlrev_b32_e32 v248, 4, v4
	v_add_co_u32 v0, vcc_lo, v54, v2
	v_add_co_ci_u32_e32 v1, vcc_lo, v55, v3, vcc_lo
	v_add_nc_u32_e32 v249, v248, v245
	v_add_co_u32 v2, vcc_lo, v0, s8
	v_add_co_ci_u32_e32 v3, vcc_lo, s1, v1, vcc_lo
	v_add_co_u32 v44, vcc_lo, v2, s8
	v_add_co_ci_u32_e32 v45, vcc_lo, s1, v3, vcc_lo
	;; [unrolled: 2-line block ×3, first 2 shown]
	s_clause 0x1
	global_load_dwordx4 v[22:25], v[234:235], off offset:112
	global_load_dwordx4 v[34:37], v[234:235], off offset:352
	s_clause 0x1
	global_load_dwordx4 v[58:61], v[0:1], off
	global_load_dwordx4 v[62:65], v[2:3], off
	v_add_co_u32 v46, vcc_lo, v44, s8
	v_add_co_ci_u32_e32 v47, vcc_lo, s1, v45, vcc_lo
	s_clause 0x1
	global_load_dwordx4 v[66:69], v[44:45], off
	global_load_dwordx4 v[70:73], v[46:47], off
	v_add_co_u32 v48, vcc_lo, v46, s8
	v_add_co_ci_u32_e32 v49, vcc_lo, s1, v47, vcc_lo
	v_add_co_u32 v0, vcc_lo, v48, s8
	v_add_co_ci_u32_e32 v1, vcc_lo, s1, v49, vcc_lo
	global_load_dwordx4 v[74:77], v[48:49], off
	v_add_co_u32 v2, vcc_lo, v0, s8
	v_add_co_ci_u32_e32 v3, vcc_lo, s1, v1, vcc_lo
	global_load_dwordx4 v[78:81], v[0:1], off
	;; [unrolled: 3-line block ×6, first 2 shown]
	v_add_co_u32 v0, vcc_lo, v44, s8
	v_add_co_ci_u32_e32 v1, vcc_lo, s1, v45, vcc_lo
	v_add_co_u32 v52, vcc_lo, v0, s8
	v_add_co_ci_u32_e32 v53, vcc_lo, s1, v1, vcc_lo
	global_load_dwordx4 v[98:101], v[44:45], off
	global_load_dwordx4 v[102:105], v[0:1], off
	s_clause 0x1
	global_load_dwordx4 v[44:47], v[234:235], off offset:592
	global_load_dwordx4 v[48:51], v[234:235], off offset:832
	global_load_dwordx4 v[106:109], v[52:53], off
	v_cmp_gt_u16_e32 vcc_lo, 2, v56
	s_waitcnt vmcnt(14)
	v_mul_f64 v[0:1], v[60:61], v[28:29]
	v_mul_f64 v[2:3], v[58:59], v[28:29]
	s_waitcnt vmcnt(13)
	v_mul_f64 v[110:111], v[64:65], v[32:33]
	v_mul_f64 v[112:113], v[62:63], v[32:33]
	s_waitcnt vmcnt(12)
	v_mul_f64 v[114:115], v[68:69], v[42:43]
	v_mul_f64 v[116:117], v[66:67], v[42:43]
	s_waitcnt vmcnt(11)
	v_mul_f64 v[118:119], v[72:73], v[150:151]
	v_mul_f64 v[120:121], v[70:71], v[150:151]
	s_waitcnt vmcnt(10)
	v_mul_f64 v[122:123], v[76:77], v[146:147]
	v_mul_f64 v[124:125], v[74:75], v[146:147]
	v_fma_f64 v[57:58], v[58:59], v[26:27], v[0:1]
	buffer_store_dword v26, off, s[48:51], 0 offset:88 ; 4-byte Folded Spill
	buffer_store_dword v27, off, s[48:51], 0 offset:92 ; 4-byte Folded Spill
	;; [unrolled: 1-line block ×4, first 2 shown]
	s_waitcnt vmcnt(9)
	v_mul_f64 v[0:1], v[80:81], v[8:9]
	s_waitcnt vmcnt(7)
	v_mul_f64 v[126:127], v[88:89], v[16:17]
	v_mul_f64 v[128:129], v[86:87], v[16:17]
	s_waitcnt vmcnt(6)
	v_mul_f64 v[130:131], v[92:93], v[20:21]
	;; [unrolled: 3-line block ×3, first 2 shown]
	s_waitcnt vmcnt(2)
	v_mul_f64 v[136:137], v[104:105], v[46:47]
	v_mul_f64 v[138:139], v[102:103], v[46:47]
	s_waitcnt vmcnt(0)
	v_mul_f64 v[140:141], v[108:109], v[50:51]
	v_mul_f64 v[142:143], v[106:107], v[50:51]
	v_fma_f64 v[59:60], v[60:61], v[26:27], -v[2:3]
	v_fma_f64 v[61:62], v[62:63], v[30:31], v[110:111]
	buffer_store_dword v30, off, s[48:51], 0 offset:104 ; 4-byte Folded Spill
	buffer_store_dword v31, off, s[48:51], 0 offset:108 ; 4-byte Folded Spill
	;; [unrolled: 1-line block ×4, first 2 shown]
	v_mul_f64 v[2:3], v[78:79], v[8:9]
	v_mul_f64 v[110:111], v[84:85], v[12:13]
	v_fma_f64 v[63:64], v[64:65], v[30:31], -v[112:113]
	v_fma_f64 v[65:66], v[66:67], v[40:41], v[114:115]
	v_fma_f64 v[67:68], v[68:69], v[40:41], -v[116:117]
	v_fma_f64 v[69:70], v[70:71], v[148:149], v[118:119]
	buffer_store_dword v148, off, s[48:51], 0 offset:152 ; 4-byte Folded Spill
	buffer_store_dword v149, off, s[48:51], 0 offset:156 ; 4-byte Folded Spill
	;; [unrolled: 1-line block ×4, first 2 shown]
	v_mul_f64 v[112:113], v[82:83], v[12:13]
	v_mul_f64 v[114:115], v[96:97], v[24:25]
	v_mul_f64 v[116:117], v[94:95], v[24:25]
	v_mul_f64 v[118:119], v[100:101], v[36:37]
	v_fma_f64 v[71:72], v[72:73], v[148:149], -v[120:121]
	v_fma_f64 v[73:74], v[74:75], v[144:145], v[122:123]
	buffer_store_dword v144, off, s[48:51], 0 offset:136 ; 4-byte Folded Spill
	buffer_store_dword v145, off, s[48:51], 0 offset:140 ; 4-byte Folded Spill
	;; [unrolled: 1-line block ×4, first 2 shown]
	v_fma_f64 v[75:76], v[76:77], v[144:145], -v[124:125]
	v_fma_f64 v[77:78], v[78:79], v[6:7], v[0:1]
	buffer_store_dword v6, off, s[48:51], 0 ; 4-byte Folded Spill
	buffer_store_dword v7, off, s[48:51], 0 offset:4 ; 4-byte Folded Spill
	buffer_store_dword v8, off, s[48:51], 0 offset:8 ; 4-byte Folded Spill
	;; [unrolled: 1-line block ×3, first 2 shown]
	v_or_b32_e32 v0, 28, v236
	v_fma_f64 v[79:80], v[80:81], v[6:7], -v[2:3]
	v_fma_f64 v[81:82], v[82:83], v[10:11], v[110:111]
	buffer_store_dword v10, off, s[48:51], 0 offset:16 ; 4-byte Folded Spill
	buffer_store_dword v11, off, s[48:51], 0 offset:20 ; 4-byte Folded Spill
	buffer_store_dword v12, off, s[48:51], 0 offset:24 ; 4-byte Folded Spill
	buffer_store_dword v13, off, s[48:51], 0 offset:28 ; 4-byte Folded Spill
	v_fma_f64 v[83:84], v[84:85], v[10:11], -v[112:113]
	v_fma_f64 v[85:86], v[86:87], v[14:15], v[126:127]
	buffer_store_dword v14, off, s[48:51], 0 offset:32 ; 4-byte Folded Spill
	buffer_store_dword v15, off, s[48:51], 0 offset:36 ; 4-byte Folded Spill
	buffer_store_dword v16, off, s[48:51], 0 offset:40 ; 4-byte Folded Spill
	buffer_store_dword v17, off, s[48:51], 0 offset:44 ; 4-byte Folded Spill
	;; [unrolled: 6-line block ×5, first 2 shown]
	s_load_dwordx2 s[14:15], s[4:5], 0x38
	s_load_dwordx4 s[8:11], s[2:3], 0x0
	ds_write_b128 v249, v[57:60]
	ds_write_b128 v249, v[61:64] offset:240
	ds_write_b128 v249, v[65:68] offset:480
	;; [unrolled: 1-line block ×8, first 2 shown]
	buffer_store_dword v0, off, s[48:51], 0 offset:188 ; 4-byte Folded Spill
	v_or_b32_e32 v0, 58, v236
	buffer_store_dword v0, off, s[48:51], 0 offset:184 ; 4-byte Folded Spill
	v_or_b32_e32 v0, 0x58, v236
	;; [unrolled: 2-line block ×5, first 2 shown]
	buffer_store_dword v0, off, s[48:51], 0 offset:168 ; 4-byte Folded Spill
	v_fma_f64 v[99:100], v[100:101], v[34:35], -v[134:135]
	v_fma_f64 v[101:102], v[102:103], v[44:45], v[136:137]
	v_fma_f64 v[103:104], v[104:105], v[44:45], -v[138:139]
	v_fma_f64 v[105:106], v[106:107], v[48:49], v[140:141]
	v_fma_f64 v[107:108], v[108:109], v[48:49], -v[142:143]
	ds_write_b128 v249, v[93:96] offset:2160
	ds_write_b128 v249, v[97:100] offset:2400
	;; [unrolled: 1-line block ×4, first 2 shown]
	s_and_saveexec_b32 s1, vcc_lo
	s_cbranch_execz .LBB0_3
; %bb.2:
	v_or_b32_e32 v4, 28, v236
	v_or_b32_e32 v5, 58, v236
	v_mad_u64_u32 v[52:53], null, 0xfffff590, s12, v[52:53]
	s_mul_i32 s0, s13, 0xfffff590
	v_mad_u64_u32 v[0:1], null, s12, v4, 0
	v_mad_u64_u32 v[2:3], null, s12, v5, 0
	s_sub_i32 s0, s0, s12
	s_mul_i32 s3, s13, 0x1e0
	v_add_nc_u32_e32 v53, s0, v53
	s_mul_hi_u32 s16, s12, 0x1e0
	s_mul_i32 s2, s12, 0x1e0
	s_add_i32 s3, s16, s3
	v_mad_u64_u32 v[56:57], null, s13, v4, v[1:2]
	v_or_b32_e32 v4, 0x58, v236
	v_mad_u64_u32 v[76:77], null, s12, v4, 0
	v_mov_b32_e32 v1, v56
	v_mad_u64_u32 v[60:61], null, s13, v5, v[3:4]
	global_load_dwordx4 v[56:59], v[52:53], off
	v_or_b32_e32 v5, 0xb2, v236
	v_lshlrev_b64 v[0:1], 4, v[0:1]
	v_mov_b32_e32 v61, v77
	v_mov_b32_e32 v3, v60
	v_mad_u64_u32 v[128:129], null, s12, v5, 0
	v_add_co_u32 v0, s0, v54, v0
	v_add_co_ci_u32_e64 v1, s0, v55, v1, s0
	v_mad_u64_u32 v[77:78], null, s13, v4, v[61:62]
	v_or_b32_e32 v4, 0x76, v236
	v_lshlrev_b64 v[2:3], 4, v[2:3]
	v_add_co_u32 v52, s0, v52, s2
	global_load_dwordx4 v[60:63], v[0:1], off
	v_mad_u64_u32 v[0:1], null, s12, v4, 0
	v_add_co_ci_u32_e64 v53, s0, s3, v53, s0
	v_add_co_u32 v2, s0, v54, v2
	v_lshlrev_b64 v[76:77], 4, v[76:77]
	v_add_co_ci_u32_e64 v3, s0, v55, v3, s0
	v_mad_u64_u32 v[96:97], null, s13, v4, v[1:2]
	v_or_b32_e32 v4, 0x94, v236
	s_clause 0x1
	global_load_dwordx4 v[64:67], v[232:233], off offset:208
	global_load_dwordx4 v[68:71], v[232:233], off offset:448
	global_load_dwordx4 v[72:75], v[52:53], off
	v_add_co_u32 v52, s0, v52, s2
	v_add_co_ci_u32_e64 v53, s0, s3, v53, s0
	v_mad_u64_u32 v[112:113], null, s12, v4, 0
	v_add_co_u32 v92, s0, v54, v76
	v_add_co_ci_u32_e64 v93, s0, v55, v77, s0
	global_load_dwordx4 v[76:79], v[2:3], off
	s_clause 0x1
	global_load_dwordx4 v[80:83], v[232:233], off offset:688
	global_load_dwordx4 v[84:87], v[232:233], off offset:928
	global_load_dwordx4 v[88:91], v[52:53], off
	global_load_dwordx4 v[92:95], v[92:93], off
	v_mov_b32_e32 v1, v96
	v_mov_b32_e32 v2, v113
	v_add_co_u32 v52, s0, v52, s2
	v_add_co_ci_u32_e64 v53, s0, s3, v53, s0
	v_mad_u64_u32 v[2:3], null, s13, v4, v[2:3]
	v_lshlrev_b64 v[0:1], 4, v[0:1]
	v_mov_b32_e32 v3, v129
	s_clause 0x1
	global_load_dwordx4 v[96:99], v[232:233], off offset:1168
	global_load_dwordx4 v[100:103], v[232:233], off offset:1408
	global_load_dwordx4 v[104:107], v[52:53], off
	v_add_co_u32 v0, s0, v54, v0
	v_mov_b32_e32 v113, v2
	v_mad_u64_u32 v[2:3], null, s13, v5, v[3:4]
	v_add_co_ci_u32_e64 v1, s0, v55, v1, s0
	v_add_co_u32 v52, s0, v52, s2
	v_add_co_ci_u32_e64 v53, s0, s3, v53, s0
	global_load_dwordx4 v[108:111], v[0:1], off
	v_lshlrev_b64 v[0:1], 4, v[112:113]
	v_mov_b32_e32 v129, v2
	v_lshlrev_b32_e32 v4, 4, v4
	v_lshlrev_b32_e32 v5, 4, v5
	s_clause 0x1
	global_load_dwordx4 v[112:115], v[232:233], off offset:1648
	global_load_dwordx4 v[116:119], v[232:233], off offset:1888
	global_load_dwordx4 v[120:123], v[52:53], off
	global_load_dwordx4 v[124:127], v[234:235], off offset:80
	v_add_co_u32 v0, s0, v54, v0
	v_lshlrev_b64 v[2:3], 4, v[128:129]
	v_add_co_ci_u32_e64 v1, s0, v55, v1, s0
	v_add_co_u32 v144, s0, v52, s2
	v_add_co_ci_u32_e64 v145, s0, s3, v53, s0
	v_add_co_u32 v2, s0, v54, v2
	v_add_co_ci_u32_e64 v3, s0, v55, v3, s0
	global_load_dwordx4 v[52:55], v[0:1], off
	global_load_dwordx4 v[128:131], v4, s[6:7]
	global_load_dwordx4 v[132:135], v[144:145], off
	global_load_dwordx4 v[136:139], v[2:3], off
	global_load_dwordx4 v[140:143], v5, s[6:7]
	v_add_co_u32 v0, s0, v144, s2
	v_add_co_ci_u32_e64 v1, s0, s3, v145, s0
	s_clause 0x1
	global_load_dwordx4 v[144:147], v[234:235], off offset:560
	global_load_dwordx4 v[148:151], v[234:235], off offset:1040
	global_load_dwordx4 v[152:155], v[0:1], off
	s_waitcnt vmcnt(23)
	v_mul_f64 v[0:1], v[58:59], v[66:67]
	v_mul_f64 v[2:3], v[56:57], v[66:67]
	s_waitcnt vmcnt(19)
	v_mul_f64 v[66:67], v[74:75], v[82:83]
	v_mul_f64 v[82:83], v[72:73], v[82:83]
	;; [unrolled: 3-line block ×4, first 2 shown]
	v_fma_f64 v[56:57], v[56:57], v[64:65], v[0:1]
	v_fma_f64 v[58:59], v[58:59], v[64:65], -v[2:3]
	v_mul_f64 v[0:1], v[62:63], v[70:71]
	v_mul_f64 v[2:3], v[60:61], v[70:71]
	s_waitcnt vmcnt(14)
	v_mul_f64 v[166:167], v[94:95], v[102:103]
	v_mul_f64 v[102:103], v[92:93], v[102:103]
	v_fma_f64 v[64:65], v[72:73], v[80:81], v[66:67]
	v_fma_f64 v[66:67], v[74:75], v[80:81], -v[82:83]
	v_fma_f64 v[74:75], v[76:77], v[84:85], v[162:163]
	v_fma_f64 v[76:77], v[78:79], v[84:85], -v[164:165]
	s_waitcnt vmcnt(11)
	v_mul_f64 v[158:159], v[106:107], v[114:115]
	v_mul_f64 v[114:115], v[104:105], v[114:115]
	s_waitcnt vmcnt(10)
	v_mul_f64 v[168:169], v[110:111], v[118:119]
	v_mul_f64 v[118:119], v[108:109], v[118:119]
	;; [unrolled: 3-line block ×3, first 2 shown]
	v_fma_f64 v[70:71], v[88:89], v[96:97], v[156:157]
	v_fma_f64 v[72:73], v[90:91], v[96:97], -v[98:99]
	v_fma_f64 v[60:61], v[60:61], v[68:69], v[0:1]
	v_fma_f64 v[62:63], v[62:63], v[68:69], -v[2:3]
	;; [unrolled: 2-line block ×3, first 2 shown]
	s_waitcnt vmcnt(6)
	v_mul_f64 v[170:171], v[54:55], v[130:131]
	v_mul_f64 v[130:131], v[52:53], v[130:131]
	s_waitcnt vmcnt(3)
	v_mul_f64 v[172:173], v[138:139], v[142:143]
	v_mul_f64 v[142:143], v[136:137], v[142:143]
	;; [unrolled: 3-line block ×4, first 2 shown]
	v_fma_f64 v[80:81], v[104:105], v[112:113], v[158:159]
	v_fma_f64 v[82:83], v[106:107], v[112:113], -v[114:115]
	v_fma_f64 v[94:95], v[108:109], v[116:117], v[168:169]
	v_fma_f64 v[96:97], v[110:111], v[116:117], -v[118:119]
	v_fma_f64 v[86:87], v[120:121], v[124:125], v[160:161]
	v_fma_f64 v[88:89], v[122:123], v[124:125], -v[126:127]
	v_fma_f64 v[52:53], v[52:53], v[128:129], v[170:171]
	v_fma_f64 v[54:55], v[54:55], v[128:129], -v[130:131]
	v_fma_f64 v[98:99], v[136:137], v[140:141], v[172:173]
	v_fma_f64 v[100:101], v[138:139], v[140:141], -v[142:143]
	v_fma_f64 v[102:103], v[132:133], v[144:145], v[174:175]
	v_fma_f64 v[104:105], v[134:135], v[144:145], -v[146:147]
	v_fma_f64 v[106:107], v[152:153], v[148:149], v[176:177]
	v_fma_f64 v[108:109], v[154:155], v[148:149], -v[150:151]
	ds_write_b128 v249, v[56:59] offset:208
	ds_write_b128 v249, v[64:67] offset:688
	;; [unrolled: 1-line block ×13, first 2 shown]
.LBB0_3:
	s_or_b32 exec_lo, exec_lo, s1
	s_waitcnt lgkmcnt(0)
	s_waitcnt_vscnt null, 0x0
	s_barrier
	buffer_gl0_inv
	ds_read_b128 v[68:71], v249
	ds_read_b128 v[72:75], v249 offset:240
	ds_read_b128 v[76:79], v249 offset:480
	;; [unrolled: 1-line block ×12, first 2 shown]
	s_load_dwordx2 s[2:3], s[4:5], 0x8
                                        ; implicit-def: $vgpr52_vgpr53
                                        ; implicit-def: $vgpr56_vgpr57
                                        ; implicit-def: $vgpr60_vgpr61
                                        ; implicit-def: $vgpr64_vgpr65
                                        ; implicit-def: $vgpr112_vgpr113
                                        ; implicit-def: $vgpr116_vgpr117
                                        ; implicit-def: $vgpr120_vgpr121
                                        ; implicit-def: $vgpr124_vgpr125
                                        ; implicit-def: $vgpr128_vgpr129
                                        ; implicit-def: $vgpr132_vgpr133
                                        ; implicit-def: $vgpr136_vgpr137
                                        ; implicit-def: $vgpr140_vgpr141
                                        ; implicit-def: $vgpr144_vgpr145
	s_and_saveexec_b32 s0, vcc_lo
	s_cbranch_execz .LBB0_5
; %bb.4:
	ds_read_b128 v[52:55], v249 offset:208
	ds_read_b128 v[56:59], v249 offset:448
	;; [unrolled: 1-line block ×13, first 2 shown]
.LBB0_5:
	s_or_b32 exec_lo, exec_lo, s0
	s_waitcnt lgkmcnt(0)
	v_add_f64 v[0:1], v[68:69], v[72:73]
	v_add_f64 v[2:3], v[70:71], v[74:75]
	v_add_f64 v[200:201], v[104:105], -v[108:109]
	v_add_f64 v[204:205], v[96:97], -v[100:101]
	s_mov_b32 s36, 0x4267c47c
	s_mov_b32 s28, 0x42a4c3d2
	;; [unrolled: 1-line block ×12, first 2 shown]
	v_add_f64 v[194:195], v[154:155], -v[150:151]
	v_add_f64 v[192:193], v[152:153], -v[148:149]
	v_add_f64 v[196:197], v[152:153], v[148:149]
	v_add_f64 v[198:199], v[154:155], v[150:151]
	v_add_f64 v[202:203], v[106:107], -v[110:111]
	v_add_f64 v[206:207], v[98:99], -v[102:103]
	v_add_f64 v[0:1], v[0:1], v[76:77]
	v_add_f64 v[2:3], v[2:3], v[78:79]
	s_mov_b32 s20, 0xe00740e9
	s_mov_b32 s18, 0x1ea71119
	;; [unrolled: 1-line block ×20, first 2 shown]
	v_add_f64 v[0:1], v[0:1], v[84:85]
	v_add_f64 v[2:3], v[2:3], v[86:87]
	s_mov_b32 s45, 0x3fcea1e5
	s_mov_b32 s44, s26
	;; [unrolled: 1-line block ×4, first 2 shown]
	v_add_f64 v[218:219], v[62:63], v[142:143]
	v_add_f64 v[4:5], v[64:65], -v[136:137]
	v_add_f64 v[224:225], v[66:67], v[138:139]
	v_add_f64 v[12:13], v[112:113], -v[132:133]
	v_add_f64 v[246:247], v[66:67], -v[138:139]
	v_add_f64 v[230:231], v[114:115], v[134:135]
	v_add_f64 v[16:17], v[116:117], -v[128:129]
	v_add_f64 v[8:9], v[114:115], -v[134:135]
	v_add_f64 v[241:242], v[118:119], v[130:131]
	v_add_f64 v[220:221], v[112:113], v[132:133]
	;; [unrolled: 1-line block ×5, first 2 shown]
	s_barrier
	buffer_gl0_inv
	v_add_f64 v[0:1], v[0:1], v[96:97]
	v_add_f64 v[2:3], v[2:3], v[98:99]
	v_mul_f64 v[32:33], v[12:13], s[44:45]
	v_mul_f64 v[228:229], v[16:17], s[24:25]
	;; [unrolled: 1-line block ×3, first 2 shown]
	v_add_f64 v[0:1], v[0:1], v[104:105]
	v_add_f64 v[2:3], v[2:3], v[106:107]
	;; [unrolled: 1-line block ×4, first 2 shown]
	v_fma_f64 v[34:35], v[230:231], s[0:1], v[32:33]
	v_fma_f64 v[18:19], v[241:242], s[4:5], -v[228:229]
	v_fma_f64 v[38:39], v[241:242], s[20:21], v[36:37]
	v_add_f64 v[156:157], v[0:1], v[152:153]
	v_add_f64 v[158:159], v[2:3], v[154:155]
	;; [unrolled: 1-line block ×12, first 2 shown]
	v_add_f64 v[100:101], v[84:85], -v[92:93]
	v_add_f64 v[84:85], v[76:77], v[88:89]
	v_add_f64 v[76:77], v[76:77], -v[88:89]
	v_add_f64 v[102:103], v[86:87], -v[94:95]
	v_add_f64 v[86:87], v[78:79], v[90:91]
	v_add_f64 v[78:79], v[78:79], -v[90:91]
	v_add_f64 v[0:1], v[0:1], v[92:93]
	v_add_f64 v[2:3], v[2:3], v[94:95]
	;; [unrolled: 1-line block ×4, first 2 shown]
	v_add_f64 v[88:89], v[74:75], -v[82:83]
	v_add_f64 v[90:91], v[72:73], v[80:81]
	v_add_f64 v[74:75], v[74:75], v[82:83]
	v_add_f64 v[72:73], v[72:73], -v[80:81]
	v_add_f64 v[148:149], v[0:1], v[80:81]
	v_add_f64 v[150:151], v[2:3], v[82:83]
	v_mul_f64 v[0:1], v[88:89], s[36:37]
	v_mul_f64 v[2:3], v[88:89], s[28:29]
	;; [unrolled: 1-line block ×8, first 2 shown]
	v_fma_f64 v[94:95], v[90:91], s[20:21], -v[0:1]
	v_fma_f64 v[0:1], v[90:91], s[20:21], v[0:1]
	v_fma_f64 v[152:153], v[90:91], s[18:19], -v[2:3]
	v_fma_f64 v[2:3], v[90:91], s[18:19], v[2:3]
	;; [unrolled: 2-line block ×6, first 2 shown]
	v_mul_f64 v[88:89], v[72:73], s[36:37]
	v_mul_f64 v[90:91], v[72:73], s[28:29]
	;; [unrolled: 1-line block ×4, first 2 shown]
	v_fma_f64 v[176:177], v[74:75], s[12:13], v[166:167]
	v_fma_f64 v[166:167], v[74:75], s[12:13], -v[166:167]
	v_fma_f64 v[178:179], v[74:75], s[4:5], v[168:169]
	v_fma_f64 v[168:169], v[74:75], s[4:5], -v[168:169]
	v_add_f64 v[94:95], v[68:69], v[94:95]
	v_add_f64 v[0:1], v[68:69], v[0:1]
	;; [unrolled: 1-line block ×8, first 2 shown]
	v_mul_f64 v[156:157], v[76:77], s[28:29]
	v_add_f64 v[80:81], v[68:69], v[162:163]
	v_mul_f64 v[162:163], v[206:207], s[22:23]
	v_fma_f64 v[170:171], v[74:75], s[20:21], v[88:89]
	v_fma_f64 v[88:89], v[74:75], s[20:21], -v[88:89]
	v_fma_f64 v[172:173], v[74:75], s[18:19], v[90:91]
	v_fma_f64 v[90:91], v[74:75], s[18:19], -v[90:91]
	;; [unrolled: 2-line block ×4, first 2 shown]
	v_add_f64 v[176:177], v[70:71], v[176:177]
	v_add_f64 v[216:217], v[70:71], v[166:167]
	;; [unrolled: 1-line block ×4, first 2 shown]
	v_mul_f64 v[164:165], v[204:205], s[22:23]
	v_mul_f64 v[166:167], v[202:203], s[24:25]
	;; [unrolled: 1-line block ×3, first 2 shown]
	v_add_f64 v[170:171], v[70:71], v[170:171]
	v_add_f64 v[184:185], v[70:71], v[88:89]
	;; [unrolled: 1-line block ×11, first 2 shown]
	v_mul_f64 v[70:71], v[78:79], s[28:29]
	v_mul_f64 v[158:159], v[102:103], s[30:31]
	v_mul_f64 v[160:161], v[100:101], s[30:31]
	v_mul_f64 v[180:181], v[194:195], s[38:39]
	v_fma_f64 v[152:153], v[84:85], s[18:19], -v[70:71]
	v_fma_f64 v[154:155], v[96:97], s[16:17], -v[158:159]
	v_fma_f64 v[70:71], v[84:85], s[18:19], v[70:71]
	v_add_f64 v[94:95], v[152:153], v[94:95]
	v_fma_f64 v[152:153], v[86:87], s[18:19], v[156:157]
	v_add_f64 v[0:1], v[70:71], v[0:1]
	v_fma_f64 v[70:71], v[86:87], s[18:19], -v[156:157]
	v_fma_f64 v[156:157], v[96:97], s[16:17], v[158:159]
	v_add_f64 v[94:95], v[154:155], v[94:95]
	v_add_f64 v[152:153], v[152:153], v[170:171]
	v_fma_f64 v[154:155], v[98:99], s[16:17], v[160:161]
	v_add_f64 v[70:71], v[70:71], v[184:185]
	v_add_f64 v[0:1], v[156:157], v[0:1]
	v_fma_f64 v[156:157], v[98:99], s[16:17], -v[160:161]
	v_mul_f64 v[170:171], v[194:195], s[26:27]
	v_mul_f64 v[184:185], v[200:201], s[28:29]
	v_add_f64 v[152:153], v[154:155], v[152:153]
	v_fma_f64 v[154:155], v[108:109], s[12:13], -v[162:163]
	v_add_f64 v[70:71], v[156:157], v[70:71]
	v_fma_f64 v[156:157], v[108:109], s[12:13], v[162:163]
	v_add_f64 v[94:95], v[154:155], v[94:95]
	v_fma_f64 v[154:155], v[110:111], s[12:13], v[164:165]
	v_add_f64 v[0:1], v[156:157], v[0:1]
	v_fma_f64 v[156:157], v[110:111], s[12:13], -v[164:165]
	v_mul_f64 v[164:165], v[102:103], s[26:27]
	v_add_f64 v[152:153], v[154:155], v[152:153]
	v_fma_f64 v[154:155], v[104:105], s[4:5], -v[166:167]
	v_add_f64 v[70:71], v[156:157], v[70:71]
	v_fma_f64 v[156:157], v[104:105], s[4:5], v[166:167]
	v_fma_f64 v[162:163], v[96:97], s[0:1], -v[164:165]
	v_mul_f64 v[166:167], v[100:101], s[26:27]
	v_add_f64 v[94:95], v[154:155], v[94:95]
	v_fma_f64 v[154:155], v[106:107], s[4:5], v[168:169]
	v_add_f64 v[0:1], v[156:157], v[0:1]
	v_fma_f64 v[156:157], v[106:107], s[4:5], -v[168:169]
	v_mul_f64 v[168:169], v[206:207], s[40:41]
	v_add_f64 v[154:155], v[154:155], v[152:153]
	v_fma_f64 v[152:153], v[196:197], s[0:1], -v[170:171]
	v_add_f64 v[70:71], v[156:157], v[70:71]
	v_fma_f64 v[156:157], v[196:197], s[0:1], v[170:171]
	v_mul_f64 v[170:171], v[204:205], s[40:41]
	v_add_f64 v[152:153], v[152:153], v[94:95]
	v_mul_f64 v[94:95], v[192:193], s[26:27]
	v_add_f64 v[156:157], v[156:157], v[0:1]
	v_mul_f64 v[0:1], v[78:79], s[22:23]
	v_fma_f64 v[178:179], v[198:199], s[0:1], v[94:95]
	v_fma_f64 v[94:95], v[198:199], s[0:1], -v[94:95]
	v_add_f64 v[154:155], v[178:179], v[154:155]
	v_add_f64 v[158:159], v[94:95], v[70:71]
	v_fma_f64 v[70:71], v[84:85], s[12:13], -v[0:1]
	v_mul_f64 v[94:95], v[76:77], s[22:23]
	v_fma_f64 v[0:1], v[84:85], s[12:13], v[0:1]
	v_mul_f64 v[178:179], v[200:201], s[34:35]
	v_add_f64 v[70:71], v[70:71], v[186:187]
	v_fma_f64 v[160:161], v[86:87], s[12:13], v[94:95]
	v_add_f64 v[0:1], v[0:1], v[2:3]
	v_fma_f64 v[2:3], v[86:87], s[12:13], -v[94:95]
	v_fma_f64 v[94:95], v[96:97], s[0:1], v[164:165]
	v_mul_f64 v[186:187], v[194:195], s[24:25]
	v_add_f64 v[70:71], v[162:163], v[70:71]
	v_add_f64 v[160:161], v[160:161], v[172:173]
	v_fma_f64 v[162:163], v[98:99], s[0:1], v[166:167]
	v_add_f64 v[2:3], v[2:3], v[188:189]
	v_add_f64 v[0:1], v[94:95], v[0:1]
	v_fma_f64 v[94:95], v[98:99], s[0:1], -v[166:167]
	v_mul_f64 v[172:173], v[202:203], s[34:35]
	v_mul_f64 v[188:189], v[202:203], s[44:45]
	v_add_f64 v[160:161], v[162:163], v[160:161]
	v_fma_f64 v[162:163], v[108:109], s[4:5], -v[168:169]
	v_add_f64 v[2:3], v[94:95], v[2:3]
	v_fma_f64 v[94:95], v[108:109], s[4:5], v[168:169]
	v_mul_f64 v[168:169], v[102:103], s[46:47]
	v_add_f64 v[70:71], v[162:163], v[70:71]
	v_fma_f64 v[162:163], v[110:111], s[4:5], v[170:171]
	v_add_f64 v[0:1], v[94:95], v[0:1]
	v_fma_f64 v[94:95], v[110:111], s[4:5], -v[170:171]
	v_fma_f64 v[170:171], v[96:97], s[12:13], -v[168:169]
	v_add_f64 v[160:161], v[162:163], v[160:161]
	v_fma_f64 v[162:163], v[104:105], s[16:17], -v[172:173]
	v_add_f64 v[2:3], v[94:95], v[2:3]
	v_fma_f64 v[94:95], v[104:105], s[16:17], v[172:173]
	v_add_f64 v[70:71], v[162:163], v[70:71]
	v_fma_f64 v[162:163], v[106:107], s[16:17], v[178:179]
	v_add_f64 v[0:1], v[94:95], v[0:1]
	v_fma_f64 v[94:95], v[106:107], s[16:17], -v[178:179]
	v_mul_f64 v[178:179], v[206:207], s[38:39]
	v_add_f64 v[162:163], v[162:163], v[160:161]
	v_fma_f64 v[160:161], v[196:197], s[20:21], -v[180:181]
	v_add_f64 v[2:3], v[94:95], v[2:3]
	v_fma_f64 v[94:95], v[196:197], s[20:21], v[180:181]
	v_mul_f64 v[180:181], v[204:205], s[38:39]
	v_add_f64 v[160:161], v[160:161], v[70:71]
	v_mul_f64 v[70:71], v[192:193], s[38:39]
	v_add_f64 v[164:165], v[94:95], v[0:1]
	v_mul_f64 v[0:1], v[78:79], s[26:27]
	v_fma_f64 v[182:183], v[198:199], s[20:21], v[70:71]
	v_fma_f64 v[70:71], v[198:199], s[20:21], -v[70:71]
	v_add_f64 v[162:163], v[182:183], v[162:163]
	v_add_f64 v[166:167], v[70:71], v[2:3]
	v_fma_f64 v[2:3], v[84:85], s[0:1], -v[0:1]
	v_mul_f64 v[70:71], v[76:77], s[26:27]
	v_mul_f64 v[182:183], v[202:203], s[28:29]
	v_fma_f64 v[0:1], v[84:85], s[0:1], v[0:1]
	v_add_f64 v[2:3], v[2:3], v[190:191]
	v_fma_f64 v[94:95], v[86:87], s[0:1], v[70:71]
	v_fma_f64 v[70:71], v[86:87], s[0:1], -v[70:71]
	v_add_f64 v[0:1], v[0:1], v[208:209]
	v_mul_f64 v[190:191], v[200:201], s[44:45]
	v_mul_f64 v[208:209], v[194:195], s[42:43]
	v_add_f64 v[2:3], v[170:171], v[2:3]
	v_mul_f64 v[170:171], v[100:101], s[46:47]
	v_add_f64 v[94:95], v[94:95], v[174:175]
	v_add_f64 v[70:71], v[70:71], v[210:211]
	v_mul_f64 v[210:211], v[200:201], s[38:39]
	v_fma_f64 v[172:173], v[98:99], s[12:13], v[170:171]
	v_add_f64 v[94:95], v[172:173], v[94:95]
	v_fma_f64 v[172:173], v[108:109], s[20:21], -v[178:179]
	v_add_f64 v[2:3], v[172:173], v[2:3]
	v_fma_f64 v[172:173], v[110:111], s[20:21], v[180:181]
	v_add_f64 v[94:95], v[172:173], v[94:95]
	v_fma_f64 v[172:173], v[104:105], s[18:19], -v[182:183]
	v_add_f64 v[2:3], v[172:173], v[2:3]
	;; [unrolled: 4-line block ×3, first 2 shown]
	v_mul_f64 v[2:3], v[192:193], s[24:25]
	v_fma_f64 v[174:175], v[198:199], s[4:5], v[2:3]
	v_fma_f64 v[2:3], v[198:199], s[4:5], -v[2:3]
	v_add_f64 v[174:175], v[174:175], v[94:95]
	v_fma_f64 v[94:95], v[96:97], s[12:13], v[168:169]
	v_add_f64 v[0:1], v[94:95], v[0:1]
	v_fma_f64 v[94:95], v[98:99], s[12:13], -v[170:171]
	v_add_f64 v[70:71], v[94:95], v[70:71]
	v_fma_f64 v[94:95], v[108:109], s[20:21], v[178:179]
	v_add_f64 v[0:1], v[94:95], v[0:1]
	v_fma_f64 v[94:95], v[110:111], s[20:21], -v[180:181]
	v_mul_f64 v[180:181], v[102:103], s[38:39]
	v_add_f64 v[70:71], v[94:95], v[70:71]
	v_fma_f64 v[94:95], v[104:105], s[18:19], v[182:183]
	v_mul_f64 v[182:183], v[100:101], s[38:39]
	v_add_f64 v[0:1], v[94:95], v[0:1]
	v_fma_f64 v[94:95], v[106:107], s[18:19], -v[184:185]
	v_mul_f64 v[184:185], v[206:207], s[30:31]
	v_add_f64 v[70:71], v[94:95], v[70:71]
	v_fma_f64 v[94:95], v[196:197], s[4:5], v[186:187]
	v_mul_f64 v[186:187], v[204:205], s[30:31]
	v_add_f64 v[170:171], v[2:3], v[70:71]
	v_add_f64 v[168:169], v[94:95], v[0:1]
	v_mul_f64 v[0:1], v[78:79], s[40:41]
	v_mul_f64 v[70:71], v[76:77], s[40:41]
	v_fma_f64 v[2:3], v[84:85], s[4:5], -v[0:1]
	v_fma_f64 v[94:95], v[86:87], s[4:5], v[70:71]
	v_fma_f64 v[0:1], v[84:85], s[4:5], v[0:1]
	v_fma_f64 v[70:71], v[86:87], s[4:5], -v[70:71]
	v_add_f64 v[2:3], v[2:3], v[212:213]
	v_add_f64 v[94:95], v[94:95], v[176:177]
	v_fma_f64 v[176:177], v[96:97], s[20:21], -v[180:181]
	v_add_f64 v[0:1], v[0:1], v[214:215]
	v_add_f64 v[70:71], v[70:71], v[216:217]
	v_mul_f64 v[212:213], v[194:195], s[22:23]
	v_add_f64 v[214:215], v[58:59], v[146:147]
	v_add_f64 v[216:217], v[64:65], v[136:137]
	;; [unrolled: 1-line block ×3, first 2 shown]
	v_fma_f64 v[176:177], v[98:99], s[20:21], v[182:183]
	v_add_f64 v[94:95], v[176:177], v[94:95]
	v_fma_f64 v[176:177], v[108:109], s[16:17], -v[184:185]
	v_add_f64 v[2:3], v[176:177], v[2:3]
	v_fma_f64 v[176:177], v[110:111], s[16:17], v[186:187]
	v_add_f64 v[94:95], v[176:177], v[94:95]
	v_fma_f64 v[176:177], v[104:105], s[0:1], -v[188:189]
	v_add_f64 v[2:3], v[176:177], v[2:3]
	;; [unrolled: 4-line block ×3, first 2 shown]
	v_mul_f64 v[2:3], v[192:193], s[42:43]
	v_fma_f64 v[178:179], v[198:199], s[18:19], v[2:3]
	v_fma_f64 v[2:3], v[198:199], s[18:19], -v[2:3]
	v_add_f64 v[178:179], v[178:179], v[94:95]
	v_fma_f64 v[94:95], v[96:97], s[20:21], v[180:181]
	v_add_f64 v[0:1], v[94:95], v[0:1]
	v_fma_f64 v[94:95], v[98:99], s[20:21], -v[182:183]
	v_add_f64 v[70:71], v[94:95], v[70:71]
	v_fma_f64 v[94:95], v[108:109], s[16:17], v[184:185]
	v_add_f64 v[0:1], v[94:95], v[0:1]
	v_fma_f64 v[94:95], v[110:111], s[16:17], -v[186:187]
	v_add_f64 v[70:71], v[94:95], v[70:71]
	v_fma_f64 v[94:95], v[104:105], s[0:1], v[188:189]
	v_mul_f64 v[188:189], v[206:207], s[44:45]
	v_add_f64 v[0:1], v[94:95], v[0:1]
	v_fma_f64 v[94:95], v[106:107], s[0:1], -v[190:191]
	v_mul_f64 v[190:191], v[204:205], s[44:45]
	v_add_f64 v[70:71], v[94:95], v[70:71]
	v_fma_f64 v[94:95], v[196:197], s[18:19], v[208:209]
	v_mul_f64 v[208:209], v[202:203], s[38:39]
	v_add_f64 v[182:183], v[2:3], v[70:71]
	v_add_f64 v[180:181], v[94:95], v[0:1]
	v_mul_f64 v[0:1], v[78:79], s[34:35]
	v_mul_f64 v[70:71], v[76:77], s[34:35]
	v_mul_f64 v[76:77], v[76:77], s[38:39]
	v_fma_f64 v[2:3], v[84:85], s[16:17], -v[0:1]
	v_fma_f64 v[0:1], v[84:85], s[16:17], v[0:1]
	v_add_f64 v[2:3], v[2:3], v[92:93]
	v_fma_f64 v[92:93], v[86:87], s[16:17], v[70:71]
	v_fma_f64 v[70:71], v[86:87], s[16:17], -v[70:71]
	v_add_f64 v[0:1], v[0:1], v[88:89]
	v_add_f64 v[90:91], v[92:93], v[90:91]
	v_mul_f64 v[92:93], v[102:103], s[28:29]
	v_add_f64 v[70:71], v[70:71], v[82:83]
	v_fma_f64 v[94:95], v[96:97], s[18:19], -v[92:93]
	v_fma_f64 v[82:83], v[96:97], s[18:19], v[92:93]
	v_add_f64 v[2:3], v[94:95], v[2:3]
	v_mul_f64 v[94:95], v[100:101], s[28:29]
	v_add_f64 v[0:1], v[82:83], v[0:1]
	v_fma_f64 v[184:185], v[98:99], s[18:19], v[94:95]
	v_fma_f64 v[82:83], v[98:99], s[18:19], -v[94:95]
	v_mul_f64 v[94:95], v[192:193], s[34:35]
	v_add_f64 v[90:91], v[184:185], v[90:91]
	v_fma_f64 v[184:185], v[108:109], s[0:1], -v[188:189]
	v_add_f64 v[70:71], v[82:83], v[70:71]
	v_fma_f64 v[82:83], v[108:109], s[0:1], v[188:189]
	v_add_f64 v[2:3], v[184:185], v[2:3]
	v_fma_f64 v[184:185], v[110:111], s[0:1], v[190:191]
	v_add_f64 v[0:1], v[82:83], v[0:1]
	v_fma_f64 v[82:83], v[110:111], s[0:1], -v[190:191]
	v_add_f64 v[90:91], v[184:185], v[90:91]
	v_fma_f64 v[184:185], v[104:105], s[20:21], -v[208:209]
	v_add_f64 v[70:71], v[82:83], v[70:71]
	v_fma_f64 v[82:83], v[104:105], s[20:21], v[208:209]
	v_add_f64 v[2:3], v[184:185], v[2:3]
	v_fma_f64 v[184:185], v[106:107], s[20:21], v[210:211]
	v_add_f64 v[0:1], v[82:83], v[0:1]
	v_fma_f64 v[82:83], v[106:107], s[20:21], -v[210:211]
	v_mul_f64 v[210:211], v[4:5], s[30:31]
	v_add_f64 v[90:91], v[184:185], v[90:91]
	v_fma_f64 v[184:185], v[196:197], s[12:13], -v[212:213]
	v_add_f64 v[70:71], v[82:83], v[70:71]
	v_fma_f64 v[82:83], v[196:197], s[12:13], v[212:213]
	v_fma_f64 v[6:7], v[224:225], s[16:17], -v[210:211]
	v_mul_f64 v[212:213], v[12:13], s[22:23]
	v_add_f64 v[184:185], v[184:185], v[2:3]
	v_mul_f64 v[2:3], v[192:193], s[22:23]
	v_add_f64 v[188:189], v[82:83], v[0:1]
	v_fma_f64 v[14:15], v[230:231], s[12:13], -v[212:213]
	v_fma_f64 v[186:187], v[198:199], s[12:13], v[2:3]
	v_fma_f64 v[2:3], v[198:199], s[12:13], -v[2:3]
	v_add_f64 v[186:187], v[186:187], v[90:91]
	v_add_f64 v[190:191], v[2:3], v[70:71]
	v_mul_f64 v[70:71], v[78:79], s[38:39]
	v_fma_f64 v[2:3], v[86:87], s[20:21], v[76:77]
	v_fma_f64 v[76:77], v[86:87], s[20:21], -v[76:77]
	v_fma_f64 v[0:1], v[84:85], s[20:21], -v[70:71]
	v_add_f64 v[2:3], v[2:3], v[74:75]
	v_mul_f64 v[74:75], v[102:103], s[24:25]
	v_fma_f64 v[70:71], v[84:85], s[20:21], v[70:71]
	v_add_f64 v[68:69], v[76:77], v[68:69]
	v_add_f64 v[0:1], v[0:1], v[80:81]
	v_fma_f64 v[78:79], v[96:97], s[4:5], -v[74:75]
	v_add_f64 v[70:71], v[70:71], v[72:73]
	v_fma_f64 v[72:73], v[96:97], s[4:5], v[74:75]
	v_add_f64 v[0:1], v[78:79], v[0:1]
	v_mul_f64 v[78:79], v[100:101], s[24:25]
	v_add_f64 v[70:71], v[72:73], v[70:71]
	v_fma_f64 v[80:81], v[98:99], s[4:5], v[78:79]
	v_fma_f64 v[74:75], v[98:99], s[4:5], -v[78:79]
	v_add_f64 v[2:3], v[80:81], v[2:3]
	v_mul_f64 v[80:81], v[206:207], s[42:43]
	v_add_f64 v[68:69], v[74:75], v[68:69]
	v_fma_f64 v[82:83], v[108:109], s[18:19], -v[80:81]
	v_fma_f64 v[72:73], v[108:109], s[18:19], v[80:81]
	v_add_f64 v[108:109], v[56:57], -v[144:145]
	v_add_f64 v[0:1], v[82:83], v[0:1]
	v_mul_f64 v[82:83], v[204:205], s[42:43]
	v_add_f64 v[70:71], v[72:73], v[70:71]
	v_mul_f64 v[208:209], v[108:109], s[36:37]
	v_mul_f64 v[78:79], v[108:109], s[28:29]
	v_fma_f64 v[88:89], v[110:111], s[18:19], v[82:83]
	v_fma_f64 v[74:75], v[110:111], s[18:19], -v[82:83]
	v_add_f64 v[110:111], v[60:61], -v[140:141]
	v_add_f64 v[2:3], v[88:89], v[2:3]
	v_mul_f64 v[88:89], v[202:203], s[22:23]
	v_add_f64 v[68:69], v[74:75], v[68:69]
	v_mul_f64 v[204:205], v[110:111], s[28:29]
	v_mul_f64 v[202:203], v[8:9], s[22:23]
	;; [unrolled: 1-line block ×3, first 2 shown]
	v_fma_f64 v[90:91], v[104:105], s[12:13], -v[88:89]
	v_fma_f64 v[72:73], v[104:105], s[12:13], v[88:89]
	v_add_f64 v[104:105], v[58:59], -v[146:147]
	v_fma_f64 v[10:11], v[220:221], s[12:13], v[202:203]
	v_fma_f64 v[82:83], v[218:219], s[12:13], v[80:81]
	v_add_f64 v[0:1], v[90:91], v[0:1]
	v_mul_f64 v[90:91], v[200:201], s[22:23]
	v_add_f64 v[70:71], v[72:73], v[70:71]
	v_add_f64 v[200:201], v[60:61], v[140:141]
	v_fma_f64 v[92:93], v[106:107], s[12:13], v[90:91]
	v_fma_f64 v[74:75], v[106:107], s[12:13], -v[90:91]
	v_add_f64 v[106:107], v[62:63], -v[142:143]
	v_add_f64 v[2:3], v[92:93], v[2:3]
	v_mul_f64 v[92:93], v[194:195], s[34:35]
	v_add_f64 v[68:69], v[74:75], v[68:69]
	v_fma_f64 v[74:75], v[198:199], s[16:17], -v[94:95]
	v_mul_f64 v[194:195], v[104:105], s[36:37]
	v_mul_f64 v[192:193], v[106:107], s[28:29]
	v_mul_f64 v[76:77], v[106:107], s[22:23]
	v_fma_f64 v[100:101], v[196:197], s[16:17], -v[92:93]
	v_fma_f64 v[72:73], v[196:197], s[16:17], v[92:93]
	v_add_f64 v[196:197], v[56:57], v[144:145]
	v_add_f64 v[253:254], v[74:75], v[68:69]
	;; [unrolled: 1-line block ×4, first 2 shown]
	v_fma_f64 v[68:69], v[196:197], s[20:21], v[194:195]
	v_fma_f64 v[70:71], v[200:201], s[18:19], v[192:193]
	v_fma_f64 v[72:73], v[218:219], s[18:19], -v[204:205]
	v_fma_f64 v[100:101], v[198:199], s[16:17], v[94:95]
	v_mul_f64 v[198:199], v[246:247], s[30:31]
	v_add_f64 v[68:69], v[52:53], v[68:69]
	v_add_f64 v[2:3], v[100:101], v[2:3]
	;; [unrolled: 1-line block ×3, first 2 shown]
	v_fma_f64 v[70:71], v[214:215], s[20:21], -v[208:209]
	v_add_f64 v[70:71], v[54:55], v[70:71]
	v_add_f64 v[70:71], v[72:73], v[70:71]
	v_fma_f64 v[72:73], v[216:217], s[16:17], v[198:199]
	v_add_f64 v[6:7], v[6:7], v[70:71]
	v_add_f64 v[68:69], v[72:73], v[68:69]
	v_fma_f64 v[70:71], v[200:201], s[12:13], -v[76:77]
	v_fma_f64 v[76:77], v[200:201], s[12:13], v[76:77]
	v_add_f64 v[6:7], v[14:15], v[6:7]
	v_add_f64 v[14:15], v[118:119], -v[130:131]
	v_add_f64 v[10:11], v[10:11], v[68:69]
	v_add_f64 v[6:7], v[18:19], v[6:7]
	v_mul_f64 v[206:207], v[14:15], s[24:25]
	v_add_f64 v[18:19], v[122:123], -v[126:127]
	v_mul_f64 v[24:25], v[14:15], s[44:45]
	v_fma_f64 v[68:69], v[226:227], s[4:5], v[206:207]
	v_mul_f64 v[222:223], v[18:19], s[26:27]
	v_fma_f64 v[26:27], v[226:227], s[0:1], -v[24:25]
	v_mul_f64 v[28:29], v[18:19], s[42:43]
	v_fma_f64 v[24:25], v[226:227], s[0:1], v[24:25]
	v_add_f64 v[10:11], v[68:69], v[10:11]
	v_fma_f64 v[68:69], v[237:238], s[0:1], v[222:223]
	v_fma_f64 v[30:31], v[237:238], s[18:19], -v[28:29]
	v_add_f64 v[72:73], v[68:69], v[10:11]
	v_add_f64 v[10:11], v[120:121], -v[124:125]
	v_mul_f64 v[239:240], v[10:11], s[26:27]
	v_fma_f64 v[68:69], v[243:244], s[0:1], -v[239:240]
	v_add_f64 v[74:75], v[68:69], v[6:7]
	v_mul_f64 v[6:7], v[104:105], s[28:29]
	v_fma_f64 v[68:69], v[196:197], s[18:19], -v[6:7]
	v_fma_f64 v[6:7], v[196:197], s[18:19], v[6:7]
	v_add_f64 v[68:69], v[52:53], v[68:69]
	v_add_f64 v[6:7], v[52:53], v[6:7]
	;; [unrolled: 1-line block ×3, first 2 shown]
	v_fma_f64 v[70:71], v[214:215], s[18:19], v[78:79]
	v_add_f64 v[6:7], v[76:77], v[6:7]
	v_fma_f64 v[76:77], v[214:215], s[18:19], -v[78:79]
	v_fma_f64 v[78:79], v[218:219], s[12:13], -v[80:81]
	v_add_f64 v[70:71], v[54:55], v[70:71]
	v_add_f64 v[76:77], v[54:55], v[76:77]
	;; [unrolled: 1-line block ×3, first 2 shown]
	v_mul_f64 v[82:83], v[246:247], s[26:27]
	v_add_f64 v[76:77], v[78:79], v[76:77]
	v_fma_f64 v[84:85], v[216:217], s[0:1], -v[82:83]
	v_fma_f64 v[78:79], v[216:217], s[0:1], v[82:83]
	v_add_f64 v[68:69], v[84:85], v[68:69]
	v_mul_f64 v[84:85], v[4:5], s[26:27]
	v_add_f64 v[6:7], v[78:79], v[6:7]
	v_fma_f64 v[86:87], v[224:225], s[0:1], v[84:85]
	v_fma_f64 v[78:79], v[224:225], s[0:1], -v[84:85]
	v_mul_f64 v[84:85], v[106:107], s[26:27]
	v_add_f64 v[70:71], v[86:87], v[70:71]
	v_mul_f64 v[86:87], v[8:9], s[40:41]
	v_add_f64 v[76:77], v[78:79], v[76:77]
	v_fma_f64 v[88:89], v[220:221], s[4:5], -v[86:87]
	v_fma_f64 v[78:79], v[220:221], s[4:5], v[86:87]
	v_mul_f64 v[86:87], v[108:109], s[30:31]
	v_add_f64 v[68:69], v[88:89], v[68:69]
	v_mul_f64 v[88:89], v[12:13], s[40:41]
	v_add_f64 v[6:7], v[78:79], v[6:7]
	v_fma_f64 v[90:91], v[230:231], s[4:5], v[88:89]
	v_fma_f64 v[78:79], v[230:231], s[4:5], -v[88:89]
	v_mul_f64 v[88:89], v[110:111], s[26:27]
	v_add_f64 v[70:71], v[90:91], v[70:71]
	v_mul_f64 v[90:91], v[14:15], s[34:35]
	v_add_f64 v[76:77], v[78:79], v[76:77]
	v_fma_f64 v[92:93], v[226:227], s[16:17], -v[90:91]
	v_fma_f64 v[78:79], v[226:227], s[16:17], v[90:91]
	v_fma_f64 v[90:91], v[218:219], s[0:1], v[88:89]
	v_add_f64 v[68:69], v[92:93], v[68:69]
	v_mul_f64 v[92:93], v[16:17], s[34:35]
	v_add_f64 v[6:7], v[78:79], v[6:7]
	v_fma_f64 v[94:95], v[241:242], s[16:17], v[92:93]
	v_fma_f64 v[78:79], v[241:242], s[16:17], -v[92:93]
	v_add_f64 v[70:71], v[94:95], v[70:71]
	v_mul_f64 v[94:95], v[18:19], s[38:39]
	v_add_f64 v[76:77], v[78:79], v[76:77]
	v_fma_f64 v[96:97], v[237:238], s[20:21], -v[94:95]
	v_fma_f64 v[78:79], v[237:238], s[20:21], v[94:95]
	v_add_f64 v[68:69], v[96:97], v[68:69]
	v_mul_f64 v[96:97], v[10:11], s[38:39]
	v_add_f64 v[80:81], v[78:79], v[6:7]
	v_mul_f64 v[6:7], v[104:105], s[30:31]
	v_fma_f64 v[78:79], v[200:201], s[0:1], -v[84:85]
	v_fma_f64 v[82:83], v[243:244], s[20:21], -v[96:97]
	v_fma_f64 v[98:99], v[243:244], s[20:21], v[96:97]
	v_add_f64 v[82:83], v[82:83], v[76:77]
	v_fma_f64 v[76:77], v[196:197], s[16:17], -v[6:7]
	v_add_f64 v[70:71], v[98:99], v[70:71]
	v_fma_f64 v[6:7], v[196:197], s[16:17], v[6:7]
	v_add_f64 v[76:77], v[52:53], v[76:77]
	v_add_f64 v[6:7], v[52:53], v[6:7]
	;; [unrolled: 1-line block ×3, first 2 shown]
	v_fma_f64 v[78:79], v[214:215], s[16:17], v[86:87]
	v_add_f64 v[78:79], v[54:55], v[78:79]
	v_add_f64 v[78:79], v[90:91], v[78:79]
	v_mul_f64 v[90:91], v[246:247], s[46:47]
	v_fma_f64 v[92:93], v[216:217], s[12:13], -v[90:91]
	v_add_f64 v[76:77], v[92:93], v[76:77]
	v_mul_f64 v[92:93], v[4:5], s[46:47]
	v_fma_f64 v[94:95], v[224:225], s[12:13], v[92:93]
	v_add_f64 v[78:79], v[94:95], v[78:79]
	v_mul_f64 v[94:95], v[8:9], s[38:39]
	v_fma_f64 v[96:97], v[220:221], s[20:21], -v[94:95]
	v_add_f64 v[76:77], v[96:97], v[76:77]
	v_mul_f64 v[96:97], v[12:13], s[38:39]
	v_fma_f64 v[98:99], v[230:231], s[20:21], v[96:97]
	;; [unrolled: 6-line block ×4, first 2 shown]
	v_fma_f64 v[20:21], v[243:244], s[4:5], -v[20:21]
	v_add_f64 v[78:79], v[22:23], v[78:79]
	v_fma_f64 v[22:23], v[200:201], s[0:1], v[84:85]
	v_fma_f64 v[84:85], v[218:219], s[0:1], -v[88:89]
	v_add_f64 v[6:7], v[22:23], v[6:7]
	v_fma_f64 v[22:23], v[214:215], s[16:17], -v[86:87]
	v_add_f64 v[22:23], v[54:55], v[22:23]
	v_add_f64 v[22:23], v[84:85], v[22:23]
	v_fma_f64 v[84:85], v[216:217], s[12:13], v[90:91]
	v_add_f64 v[6:7], v[84:85], v[6:7]
	v_fma_f64 v[84:85], v[224:225], s[12:13], -v[92:93]
	v_mul_f64 v[92:93], v[108:109], s[22:23]
	v_add_f64 v[22:23], v[84:85], v[22:23]
	v_fma_f64 v[84:85], v[220:221], s[20:21], v[94:95]
	v_mul_f64 v[94:95], v[110:111], s[40:41]
	v_add_f64 v[6:7], v[84:85], v[6:7]
	v_fma_f64 v[84:85], v[230:231], s[20:21], -v[96:97]
	v_fma_f64 v[86:87], v[218:219], s[4:5], v[94:95]
	v_mul_f64 v[96:97], v[246:247], s[38:39]
	v_add_f64 v[22:23], v[84:85], v[22:23]
	v_fma_f64 v[84:85], v[226:227], s[18:19], v[98:99]
	v_mul_f64 v[98:99], v[4:5], s[38:39]
	v_add_f64 v[6:7], v[84:85], v[6:7]
	v_fma_f64 v[84:85], v[241:242], s[18:19], -v[100:101]
	v_mul_f64 v[100:101], v[8:9], s[30:31]
	v_add_f64 v[22:23], v[84:85], v[22:23]
	v_fma_f64 v[84:85], v[237:238], s[4:5], v[102:103]
	v_mul_f64 v[102:103], v[12:13], s[30:31]
	v_mul_f64 v[12:13], v[12:13], s[42:43]
	v_add_f64 v[90:91], v[20:21], v[22:23]
	v_add_f64 v[88:89], v[84:85], v[6:7]
	v_mul_f64 v[6:7], v[104:105], s[22:23]
	v_mul_f64 v[22:23], v[106:107], s[40:41]
	v_fma_f64 v[20:21], v[196:197], s[12:13], -v[6:7]
	v_fma_f64 v[84:85], v[200:201], s[4:5], -v[22:23]
	v_fma_f64 v[6:7], v[196:197], s[12:13], v[6:7]
	v_fma_f64 v[22:23], v[200:201], s[4:5], v[22:23]
	v_add_f64 v[20:21], v[52:53], v[20:21]
	v_add_f64 v[6:7], v[52:53], v[6:7]
	;; [unrolled: 1-line block ×3, first 2 shown]
	v_fma_f64 v[84:85], v[214:215], s[12:13], v[92:93]
	v_add_f64 v[6:7], v[22:23], v[6:7]
	v_fma_f64 v[22:23], v[214:215], s[12:13], -v[92:93]
	v_add_f64 v[84:85], v[54:55], v[84:85]
	v_add_f64 v[22:23], v[54:55], v[22:23]
	;; [unrolled: 1-line block ×3, first 2 shown]
	v_fma_f64 v[86:87], v[216:217], s[20:21], -v[96:97]
	v_add_f64 v[20:21], v[86:87], v[20:21]
	v_fma_f64 v[86:87], v[224:225], s[20:21], v[98:99]
	v_add_f64 v[84:85], v[86:87], v[84:85]
	v_fma_f64 v[86:87], v[220:221], s[16:17], -v[100:101]
	v_add_f64 v[20:21], v[86:87], v[20:21]
	v_fma_f64 v[86:87], v[230:231], s[16:17], v[102:103]
	v_add_f64 v[20:21], v[26:27], v[20:21]
	v_mul_f64 v[26:27], v[16:17], s[44:45]
	v_add_f64 v[84:85], v[86:87], v[84:85]
	v_mul_f64 v[16:17], v[16:17], s[22:23]
	v_fma_f64 v[86:87], v[241:242], s[0:1], v[26:27]
	v_add_f64 v[86:87], v[86:87], v[84:85]
	v_add_f64 v[84:85], v[30:31], v[20:21]
	v_mul_f64 v[20:21], v[10:11], s[42:43]
	v_fma_f64 v[30:31], v[243:244], s[18:19], v[20:21]
	v_fma_f64 v[20:21], v[243:244], s[18:19], -v[20:21]
	v_add_f64 v[86:87], v[30:31], v[86:87]
	v_fma_f64 v[30:31], v[218:219], s[4:5], -v[94:95]
	v_add_f64 v[22:23], v[30:31], v[22:23]
	v_fma_f64 v[30:31], v[216:217], s[20:21], v[96:97]
	v_add_f64 v[6:7], v[30:31], v[6:7]
	v_fma_f64 v[30:31], v[224:225], s[20:21], -v[98:99]
	v_add_f64 v[22:23], v[30:31], v[22:23]
	v_fma_f64 v[30:31], v[220:221], s[16:17], v[100:101]
	v_mul_f64 v[100:101], v[4:5], s[28:29]
	v_mul_f64 v[4:5], v[4:5], s[24:25]
	v_add_f64 v[6:7], v[30:31], v[6:7]
	v_fma_f64 v[30:31], v[230:231], s[16:17], -v[102:103]
	v_mul_f64 v[102:103], v[8:9], s[44:45]
	v_mul_f64 v[8:9], v[8:9], s[42:43]
	v_add_f64 v[6:7], v[24:25], v[6:7]
	v_add_f64 v[22:23], v[30:31], v[22:23]
	v_fma_f64 v[24:25], v[241:242], s[0:1], -v[26:27]
	v_add_f64 v[22:23], v[24:25], v[22:23]
	v_fma_f64 v[24:25], v[237:238], s[18:19], v[28:29]
	v_mul_f64 v[28:29], v[110:111], s[34:35]
	v_add_f64 v[98:99], v[20:21], v[22:23]
	v_add_f64 v[96:97], v[24:25], v[6:7]
	v_mul_f64 v[6:7], v[104:105], s[24:25]
	v_mul_f64 v[22:23], v[106:107], s[34:35]
	v_fma_f64 v[30:31], v[218:219], s[16:17], v[28:29]
	v_fma_f64 v[20:21], v[196:197], s[4:5], -v[6:7]
	v_fma_f64 v[24:25], v[200:201], s[16:17], -v[22:23]
	v_fma_f64 v[6:7], v[196:197], s[4:5], v[6:7]
	v_fma_f64 v[22:23], v[200:201], s[16:17], v[22:23]
	v_add_f64 v[20:21], v[52:53], v[20:21]
	v_add_f64 v[6:7], v[52:53], v[6:7]
	;; [unrolled: 1-line block ×3, first 2 shown]
	v_mul_f64 v[24:25], v[108:109], s[24:25]
	v_add_f64 v[6:7], v[22:23], v[6:7]
	v_fma_f64 v[26:27], v[214:215], s[4:5], v[24:25]
	v_fma_f64 v[22:23], v[214:215], s[4:5], -v[24:25]
	v_fma_f64 v[24:25], v[218:219], s[16:17], -v[28:29]
	v_add_f64 v[26:27], v[54:55], v[26:27]
	v_add_f64 v[22:23], v[54:55], v[22:23]
	;; [unrolled: 1-line block ×3, first 2 shown]
	v_mul_f64 v[30:31], v[246:247], s[28:29]
	v_add_f64 v[22:23], v[24:25], v[22:23]
	v_fma_f64 v[92:93], v[216:217], s[18:19], -v[30:31]
	v_fma_f64 v[24:25], v[216:217], s[18:19], v[30:31]
	v_add_f64 v[20:21], v[92:93], v[20:21]
	v_fma_f64 v[92:93], v[224:225], s[18:19], v[100:101]
	v_add_f64 v[6:7], v[24:25], v[6:7]
	v_fma_f64 v[24:25], v[224:225], s[18:19], -v[100:101]
	v_add_f64 v[26:27], v[92:93], v[26:27]
	v_fma_f64 v[92:93], v[220:221], s[0:1], -v[102:103]
	v_add_f64 v[22:23], v[24:25], v[22:23]
	v_fma_f64 v[24:25], v[220:221], s[0:1], v[102:103]
	v_add_f64 v[26:27], v[34:35], v[26:27]
	v_mul_f64 v[34:35], v[14:15], s[38:39]
	v_add_f64 v[20:21], v[92:93], v[20:21]
	v_add_f64 v[6:7], v[24:25], v[6:7]
	v_fma_f64 v[24:25], v[230:231], s[0:1], -v[32:33]
	v_mul_f64 v[14:15], v[14:15], s[22:23]
	v_add_f64 v[26:27], v[38:39], v[26:27]
	v_fma_f64 v[92:93], v[226:227], s[20:21], -v[34:35]
	v_mul_f64 v[38:39], v[18:19], s[22:23]
	v_mul_f64 v[18:19], v[18:19], s[34:35]
	v_add_f64 v[22:23], v[24:25], v[22:23]
	v_fma_f64 v[24:25], v[226:227], s[20:21], v[34:35]
	v_add_f64 v[20:21], v[92:93], v[20:21]
	v_fma_f64 v[92:93], v[237:238], s[12:13], -v[38:39]
	v_add_f64 v[6:7], v[24:25], v[6:7]
	v_fma_f64 v[24:25], v[241:242], s[20:21], -v[36:37]
	v_add_f64 v[92:93], v[92:93], v[20:21]
	v_mul_f64 v[20:21], v[10:11], s[22:23]
	v_mul_f64 v[10:11], v[10:11], s[34:35]
	v_add_f64 v[22:23], v[24:25], v[22:23]
	v_fma_f64 v[24:25], v[237:238], s[12:13], v[38:39]
	v_fma_f64 v[94:95], v[243:244], s[12:13], v[20:21]
	v_fma_f64 v[20:21], v[243:244], s[12:13], -v[20:21]
	v_add_f64 v[100:101], v[24:25], v[6:7]
	v_mul_f64 v[6:7], v[104:105], s[26:27]
	v_add_f64 v[94:95], v[94:95], v[26:27]
	v_add_f64 v[102:103], v[20:21], v[22:23]
	v_mul_f64 v[20:21], v[106:107], s[38:39]
	v_mul_f64 v[26:27], v[110:111], s[38:39]
	v_fma_f64 v[22:23], v[196:197], s[0:1], -v[6:7]
	v_fma_f64 v[6:7], v[196:197], s[0:1], v[6:7]
	v_fma_f64 v[24:25], v[200:201], s[20:21], -v[20:21]
	v_fma_f64 v[30:31], v[218:219], s[20:21], v[26:27]
	v_fma_f64 v[20:21], v[200:201], s[20:21], v[20:21]
	v_add_f64 v[22:23], v[52:53], v[22:23]
	v_add_f64 v[6:7], v[52:53], v[6:7]
	;; [unrolled: 1-line block ×3, first 2 shown]
	v_mul_f64 v[24:25], v[108:109], s[26:27]
	v_add_f64 v[6:7], v[20:21], v[6:7]
	v_fma_f64 v[28:29], v[214:215], s[0:1], v[24:25]
	v_fma_f64 v[20:21], v[214:215], s[0:1], -v[24:25]
	v_add_f64 v[28:29], v[54:55], v[28:29]
	v_add_f64 v[20:21], v[54:55], v[20:21]
	;; [unrolled: 1-line block ×3, first 2 shown]
	v_mul_f64 v[30:31], v[246:247], s[24:25]
	v_fma_f64 v[32:33], v[216:217], s[4:5], -v[30:31]
	v_add_f64 v[22:23], v[32:33], v[22:23]
	v_fma_f64 v[32:33], v[224:225], s[4:5], v[4:5]
	v_fma_f64 v[4:5], v[224:225], s[4:5], -v[4:5]
	v_add_f64 v[28:29], v[32:33], v[28:29]
	v_fma_f64 v[32:33], v[220:221], s[18:19], -v[8:9]
	v_fma_f64 v[8:9], v[220:221], s[18:19], v[8:9]
	v_add_f64 v[22:23], v[32:33], v[22:23]
	v_fma_f64 v[32:33], v[230:231], s[18:19], v[12:13]
	v_add_f64 v[28:29], v[32:33], v[28:29]
	v_fma_f64 v[32:33], v[226:227], s[12:13], -v[14:15]
	v_add_f64 v[22:23], v[32:33], v[22:23]
	v_fma_f64 v[32:33], v[241:242], s[12:13], v[16:17]
	v_add_f64 v[28:29], v[32:33], v[28:29]
	v_fma_f64 v[32:33], v[237:238], s[16:17], -v[18:19]
	v_add_f64 v[104:105], v[32:33], v[22:23]
	v_fma_f64 v[22:23], v[243:244], s[16:17], v[10:11]
	v_fma_f64 v[10:11], v[243:244], s[16:17], -v[10:11]
	v_add_f64 v[106:107], v[22:23], v[28:29]
	v_fma_f64 v[22:23], v[218:219], s[20:21], -v[26:27]
	v_add_f64 v[20:21], v[22:23], v[20:21]
	v_fma_f64 v[22:23], v[216:217], s[4:5], v[30:31]
	v_add_f64 v[4:5], v[4:5], v[20:21]
	v_add_f64 v[6:7], v[22:23], v[6:7]
	;; [unrolled: 1-line block ×3, first 2 shown]
	v_fma_f64 v[8:9], v[230:231], s[18:19], -v[12:13]
	v_add_f64 v[4:5], v[8:9], v[4:5]
	v_fma_f64 v[8:9], v[226:227], s[12:13], v[14:15]
	v_add_f64 v[6:7], v[8:9], v[6:7]
	v_fma_f64 v[8:9], v[241:242], s[12:13], -v[16:17]
	v_add_f64 v[4:5], v[8:9], v[4:5]
	v_fma_f64 v[8:9], v[237:238], s[16:17], v[18:19]
	v_add_f64 v[110:111], v[10:11], v[4:5]
	v_mul_lo_u16 v4, v236, 13
	v_add_f64 v[108:109], v[8:9], v[6:7]
	v_and_b32_e32 v4, 0xffff, v4
	v_lshl_add_u32 v250, v4, 4, v248
	ds_write_b128 v250, v[148:151]
	ds_write_b128 v250, v[152:155] offset:16
	ds_write_b128 v250, v[160:163] offset:32
	;; [unrolled: 1-line block ×12, first 2 shown]
	v_add_co_u32 v148, null, v236, 13
	v_mul_u32_u24_e32 v254, 13, v148
	s_and_saveexec_b32 s22, vcc_lo
	s_cbranch_execz .LBB0_7
; %bb.6:
	v_add_f64 v[0:1], v[54:55], v[58:59]
	v_add_f64 v[2:3], v[52:53], v[56:57]
	v_mul_f64 v[4:5], v[214:215], s[20:21]
	v_mul_f64 v[6:7], v[196:197], s[20:21]
	;; [unrolled: 1-line block ×8, first 2 shown]
	v_add_f64 v[0:1], v[0:1], v[62:63]
	v_add_f64 v[2:3], v[2:3], v[60:61]
	;; [unrolled: 1-line block ×3, first 2 shown]
	v_add_f64 v[6:7], v[6:7], -v[194:195]
	v_add_f64 v[8:9], v[204:205], v[8:9]
	v_add_f64 v[10:11], v[10:11], -v[192:193]
	v_add_f64 v[12:13], v[12:13], -v[198:199]
	v_add_f64 v[14:15], v[210:211], v[14:15]
	v_add_f64 v[16:17], v[16:17], -v[202:203]
	v_add_f64 v[18:19], v[212:213], v[18:19]
	v_add_f64 v[0:1], v[0:1], v[66:67]
	;; [unrolled: 1-line block ×9, first 2 shown]
	v_mul_f64 v[8:9], v[226:227], s[4:5]
	v_mul_f64 v[10:11], v[241:242], s[4:5]
	v_add_f64 v[0:1], v[0:1], v[118:119]
	v_add_f64 v[2:3], v[2:3], v[116:117]
	;; [unrolled: 1-line block ×4, first 2 shown]
	v_mul_f64 v[12:13], v[237:238], s[0:1]
	v_mul_f64 v[14:15], v[243:244], s[0:1]
	v_add_f64 v[10:11], v[228:229], v[10:11]
	v_add_f64 v[8:9], v[8:9], -v[206:207]
	v_add_f64 v[0:1], v[0:1], v[122:123]
	v_add_f64 v[2:3], v[2:3], v[120:121]
	;; [unrolled: 1-line block ×4, first 2 shown]
	v_add_f64 v[12:13], v[12:13], -v[222:223]
	v_add_f64 v[14:15], v[239:240], v[14:15]
	v_add_f64 v[0:1], v[0:1], v[126:127]
	;; [unrolled: 1-line block ×15, first 2 shown]
	v_lshl_add_u32 v4, v254, 4, v248
	v_add_f64 v[54:55], v[8:9], v[146:147]
	v_add_f64 v[52:53], v[10:11], v[144:145]
	ds_write_b128 v4, v[68:71] offset:32
	ds_write_b128 v4, v[76:79] offset:48
	;; [unrolled: 1-line block ×11, first 2 shown]
	ds_write_b128 v4, v[52:55]
	ds_write_b128 v4, v[72:75] offset:192
.LBB0_7:
	s_or_b32 exec_lo, exec_lo, s22
	v_lshlrev_b32_e32 v144, 6, v236
	s_waitcnt lgkmcnt(0)
	s_barrier
	buffer_gl0_inv
	v_add_co_u32 v145, null, v236, 26
	s_clause 0x3
	global_load_dwordx4 v[64:67], v144, s[2:3]
	global_load_dwordx4 v[60:63], v144, s[2:3] offset:16
	global_load_dwordx4 v[56:59], v144, s[2:3] offset:32
	;; [unrolled: 1-line block ×3, first 2 shown]
	ds_read_b128 v[120:123], v249 offset:624
	ds_read_b128 v[124:127], v249 offset:1248
	;; [unrolled: 1-line block ×8, first 2 shown]
	v_and_b32_e32 v36, 0xff, v145
	ds_read_b128 v[140:143], v249 offset:1664
	s_mov_b32 s12, 0x134454ff
	s_mov_b32 s13, 0x3fee6f0e
	;; [unrolled: 1-line block ×3, first 2 shown]
	v_mul_lo_u16 v36, 0x4f, v36
	s_mov_b32 s16, s12
	s_mov_b32 s0, 0x4755a5e
	s_mov_b32 s1, 0x3fe2cf23
	s_mov_b32 s5, 0xbfe2cf23
	v_lshrrev_b16 v36, 10, v36
	s_mov_b32 s4, s0
	s_mov_b32 s18, 0x372fe950
	;; [unrolled: 1-line block ×3, first 2 shown]
	v_lshl_add_u32 v252, v236, 4, v248
	v_mul_lo_u16 v36, v36, 13
	v_mov_b32_e32 v253, v248
	v_sub_nc_u16 v183, v145, v36
	v_lshlrev_b16 v36, 2, v183
	v_and_b32_e32 v36, 0xfc, v36
	s_waitcnt vmcnt(3) lgkmcnt(8)
	v_mul_f64 v[4:5], v[122:123], v[66:67]
	v_mul_f64 v[6:7], v[120:121], v[66:67]
	s_waitcnt vmcnt(1) lgkmcnt(6)
	v_mul_f64 v[12:13], v[118:119], v[58:59]
	s_waitcnt vmcnt(0) lgkmcnt(5)
	v_mul_f64 v[16:17], v[112:113], v[54:55]
	v_mul_f64 v[18:19], v[114:115], v[54:55]
	;; [unrolled: 1-line block ×3, first 2 shown]
	s_waitcnt lgkmcnt(2)
	v_mul_f64 v[24:25], v[134:135], v[62:63]
	v_mul_f64 v[26:27], v[132:133], v[62:63]
	s_waitcnt lgkmcnt(1)
	v_mul_f64 v[32:33], v[138:139], v[54:55]
	v_mul_f64 v[34:35], v[136:137], v[54:55]
	;; [unrolled: 1-line block ×6, first 2 shown]
	v_fma_f64 v[4:5], v[120:121], v[64:65], -v[4:5]
	v_fma_f64 v[6:7], v[122:123], v[64:65], v[6:7]
	ds_read_b128 v[120:123], v249 offset:1040
	v_fma_f64 v[16:17], v[114:115], v[52:53], v[16:17]
	v_fma_f64 v[18:19], v[112:113], v[52:53], -v[18:19]
	ds_read_b128 v[112:115], v249 offset:2080
	v_fma_f64 v[12:13], v[116:117], v[56:57], -v[12:13]
	v_fma_f64 v[14:15], v[118:119], v[56:57], v[14:15]
	ds_read_b128 v[116:119], v249 offset:2288
	v_fma_f64 v[24:25], v[132:133], v[60:61], -v[24:25]
	v_fma_f64 v[26:27], v[134:135], v[60:61], v[26:27]
	v_fma_f64 v[32:33], v[136:137], v[52:53], -v[32:33]
	v_fma_f64 v[34:35], v[138:139], v[52:53], v[34:35]
	;; [unrolled: 2-line block ×4, first 2 shown]
	s_waitcnt lgkmcnt(1)
	v_mul_f64 v[30:31], v[112:113], v[58:59]
	v_mul_f64 v[28:29], v[114:115], v[58:59]
	v_add_f64 v[153:154], v[6:7], -v[16:17]
	v_add_f64 v[157:158], v[4:5], -v[18:19]
	;; [unrolled: 1-line block ×4, first 2 shown]
	v_fma_f64 v[30:31], v[114:115], v[56:57], v[30:31]
	v_lshlrev_b32_e32 v114, 4, v36
	s_clause 0x1
	global_load_dwordx4 v[136:139], v114, s[2:3]
	global_load_dwordx4 v[132:135], v114, s[2:3] offset:16
	v_fma_f64 v[28:29], v[112:113], v[56:57], -v[28:29]
	v_add_f64 v[165:166], v[24:25], -v[28:29]
	s_waitcnt vmcnt(1)
	v_mul_f64 v[36:37], v[122:123], v[138:139]
	s_waitcnt vmcnt(0)
	v_mul_f64 v[112:113], v[142:143], v[134:135]
	v_mul_f64 v[38:39], v[120:121], v[138:139]
	v_fma_f64 v[36:37], v[120:121], v[136:137], -v[36:37]
	v_fma_f64 v[146:147], v[140:141], v[132:133], -v[112:113]
	v_mul_f64 v[112:113], v[140:141], v[134:135]
	v_add_f64 v[120:121], v[8:9], v[12:13]
	v_fma_f64 v[38:39], v[122:123], v[136:137], v[38:39]
	v_fma_f64 v[173:174], v[142:143], v[132:133], v[112:113]
	s_clause 0x1
	global_load_dwordx4 v[140:143], v114, s[2:3] offset:32
	global_load_dwordx4 v[128:131], v114, s[2:3] offset:48
	s_waitcnt vmcnt(1) lgkmcnt(0)
	v_mul_f64 v[112:113], v[118:119], v[142:143]
	v_fma_f64 v[175:176], v[116:117], v[140:141], -v[112:113]
	v_mul_f64 v[112:113], v[116:117], v[142:143]
	v_fma_f64 v[177:178], v[118:119], v[140:141], v[112:113]
	ds_read_b128 v[112:115], v249 offset:2912
	s_waitcnt vmcnt(0) lgkmcnt(0)
	v_mul_f64 v[116:117], v[114:115], v[130:131]
	v_fma_f64 v[179:180], v[112:113], v[128:129], -v[116:117]
	v_mul_f64 v[112:113], v[112:113], v[130:131]
	v_fma_f64 v[181:182], v[114:115], v[128:129], v[112:113]
	v_add_f64 v[112:113], v[4:5], -v[8:9]
	v_add_f64 v[114:115], v[18:19], -v[12:13]
	v_add_f64 v[124:125], v[112:113], v[114:115]
	v_add_f64 v[112:113], v[6:7], -v[10:11]
	v_add_f64 v[114:115], v[16:17], -v[14:15]
	v_add_f64 v[126:127], v[112:113], v[114:115]
	ds_read_b128 v[112:115], v249
	ds_read_b128 v[116:119], v249 offset:208
	s_waitcnt lgkmcnt(0)
	s_barrier
	buffer_gl0_inv
	v_fma_f64 v[149:150], v[120:121], -0.5, v[112:113]
	v_add_f64 v[120:121], v[10:11], v[14:15]
	v_fma_f64 v[151:152], v[120:121], -0.5, v[114:115]
	v_fma_f64 v[120:121], v[153:154], s[12:13], v[149:150]
	v_fma_f64 v[149:150], v[153:154], s[16:17], v[149:150]
	;; [unrolled: 1-line block ×10, first 2 shown]
	v_add_f64 v[149:150], v[4:5], v[18:19]
	v_fma_f64 v[122:123], v[126:127], s[18:19], v[122:123]
	v_fma_f64 v[126:127], v[126:127], s[18:19], v[151:152]
	v_add_f64 v[151:152], v[6:7], v[16:17]
	v_fma_f64 v[149:150], v[149:150], -0.5, v[112:113]
	v_add_f64 v[112:113], v[112:113], v[4:5]
	v_add_f64 v[4:5], v[8:9], -v[4:5]
	v_fma_f64 v[151:152], v[151:152], -0.5, v[114:115]
	v_add_f64 v[114:115], v[114:115], v[6:7]
	v_add_f64 v[6:7], v[10:11], -v[6:7]
	v_add_f64 v[8:9], v[112:113], v[8:9]
	v_add_f64 v[112:113], v[114:115], v[10:11]
	;; [unrolled: 1-line block ×3, first 2 shown]
	v_add_f64 v[12:13], v[12:13], -v[18:19]
	v_add_f64 v[10:11], v[112:113], v[14:15]
	v_add_f64 v[112:113], v[8:9], v[18:19]
	v_add_f64 v[8:9], v[14:15], -v[16:17]
	v_fma_f64 v[14:15], v[155:156], s[12:13], v[149:150]
	v_fma_f64 v[18:19], v[159:160], s[16:17], v[151:152]
	v_add_f64 v[4:5], v[4:5], v[12:13]
	v_add_f64 v[114:115], v[10:11], v[16:17]
	v_fma_f64 v[10:11], v[155:156], s[16:17], v[149:150]
	v_fma_f64 v[16:17], v[159:160], s[12:13], v[151:152]
	v_add_f64 v[6:7], v[6:7], v[8:9]
	v_fma_f64 v[8:9], v[153:154], s[0:1], v[10:11]
	v_fma_f64 v[10:11], v[153:154], s[4:5], v[14:15]
	;; [unrolled: 1-line block ×4, first 2 shown]
	v_add_f64 v[18:19], v[20:21], -v[32:33]
	v_fma_f64 v[149:150], v[4:5], s[18:19], v[8:9]
	v_fma_f64 v[153:154], v[4:5], s[18:19], v[10:11]
	;; [unrolled: 1-line block ×4, first 2 shown]
	v_add_f64 v[4:5], v[20:21], -v[24:25]
	v_add_f64 v[6:7], v[32:33], -v[28:29]
	;; [unrolled: 1-line block ×3, first 2 shown]
	v_add_f64 v[10:11], v[26:27], v[30:31]
	v_add_f64 v[12:13], v[22:23], -v[34:35]
	v_add_f64 v[14:15], v[26:27], -v[30:31]
	v_add_f64 v[4:5], v[4:5], v[6:7]
	v_add_f64 v[6:7], v[22:23], -v[26:27]
	v_fma_f64 v[10:11], v[10:11], -0.5, v[118:119]
	v_add_f64 v[6:7], v[6:7], v[8:9]
	v_add_f64 v[8:9], v[24:25], v[28:29]
	v_fma_f64 v[157:158], v[18:19], s[16:17], v[10:11]
	v_fma_f64 v[10:11], v[18:19], s[12:13], v[10:11]
	v_fma_f64 v[8:9], v[8:9], -0.5, v[116:117]
	v_fma_f64 v[159:160], v[165:166], s[4:5], v[157:158]
	v_fma_f64 v[10:11], v[165:166], s[0:1], v[10:11]
	;; [unrolled: 1-line block ×5, first 2 shown]
	v_add_f64 v[10:11], v[118:119], v[22:23]
	v_fma_f64 v[159:160], v[6:7], s[18:19], v[159:160]
	v_add_f64 v[6:7], v[22:23], v[34:35]
	v_fma_f64 v[16:17], v[14:15], s[0:1], v[16:17]
	v_fma_f64 v[8:9], v[14:15], s[4:5], v[8:9]
	v_add_f64 v[10:11], v[10:11], v[26:27]
	v_fma_f64 v[6:7], v[6:7], -0.5, v[118:119]
	v_fma_f64 v[157:158], v[4:5], s[18:19], v[16:17]
	v_fma_f64 v[161:162], v[4:5], s[18:19], v[8:9]
	v_add_f64 v[8:9], v[116:117], v[20:21]
	v_add_f64 v[4:5], v[20:21], v[32:33]
	v_add_f64 v[10:11], v[10:11], v[30:31]
	v_add_f64 v[16:17], v[24:25], -v[20:21]
	v_add_f64 v[20:21], v[26:27], -v[22:23]
	;; [unrolled: 1-line block ×3, first 2 shown]
	v_add_f64 v[8:9], v[8:9], v[24:25]
	v_fma_f64 v[4:5], v[4:5], -0.5, v[116:117]
	v_add_f64 v[118:119], v[10:11], v[34:35]
	v_add_f64 v[16:17], v[16:17], v[22:23]
	;; [unrolled: 1-line block ×3, first 2 shown]
	v_fma_f64 v[10:11], v[14:15], s[16:17], v[4:5]
	v_fma_f64 v[4:5], v[14:15], s[12:13], v[4:5]
	;; [unrolled: 1-line block ×4, first 2 shown]
	v_add_f64 v[116:117], v[8:9], v[32:33]
	v_add_f64 v[8:9], v[30:31], -v[34:35]
	v_fma_f64 v[4:5], v[12:13], s[4:5], v[4:5]
	v_fma_f64 v[10:11], v[12:13], s[0:1], v[10:11]
	;; [unrolled: 1-line block ×4, first 2 shown]
	v_add_f64 v[18:19], v[146:147], -v[175:176]
	v_add_f64 v[14:15], v[38:39], -v[181:182]
	ds_write_b128 v249, v[112:115]
	ds_write_b128 v249, v[116:119] offset:1040
	ds_write_b128 v249, v[120:123] offset:208
	ds_write_b128 v249, v[149:152] offset:416
	v_lshlrev_b32_e32 v152, 5, v236
	v_add_f64 v[8:9], v[20:21], v[8:9]
	v_fma_f64 v[169:170], v[16:17], s[18:19], v[4:5]
	v_add_f64 v[4:5], v[146:147], -v[36:37]
	v_fma_f64 v[165:166], v[16:17], s[18:19], v[10:11]
	v_add_f64 v[10:11], v[38:39], v[181:182]
	v_add_f64 v[20:21], v[36:37], -v[179:180]
	ds_write_b128 v249, v[153:156] offset:624
	ds_write_b128 v249, v[124:127] offset:832
	;; [unrolled: 1-line block ×3, first 2 shown]
	v_fma_f64 v[171:172], v[8:9], s[18:19], v[6:7]
	v_add_f64 v[6:7], v[175:176], -v[179:180]
	v_fma_f64 v[167:168], v[8:9], s[18:19], v[12:13]
	v_add_f64 v[8:9], v[177:178], -v[181:182]
	v_fma_f64 v[10:11], v[10:11], -0.5, v[2:3]
	v_add_f64 v[12:13], v[173:174], -v[177:178]
	v_add_f64 v[4:5], v[4:5], v[6:7]
	v_add_f64 v[6:7], v[173:174], -v[38:39]
	v_fma_f64 v[22:23], v[18:19], s[12:13], v[10:11]
	v_fma_f64 v[10:11], v[18:19], s[16:17], v[10:11]
	v_add_f64 v[6:7], v[6:7], v[8:9]
	v_add_f64 v[8:9], v[36:37], v[179:180]
	v_fma_f64 v[22:23], v[20:21], s[4:5], v[22:23]
	v_fma_f64 v[10:11], v[20:21], s[0:1], v[10:11]
	v_fma_f64 v[8:9], v[8:9], -0.5, v[0:1]
	v_fma_f64 v[114:115], v[6:7], s[18:19], v[22:23]
	v_fma_f64 v[118:119], v[6:7], s[18:19], v[10:11]
	v_add_f64 v[6:7], v[173:174], v[177:178]
	v_add_f64 v[10:11], v[38:39], -v[173:174]
	v_add_f64 v[22:23], v[181:182], -v[177:178]
	v_fma_f64 v[16:17], v[12:13], s[16:17], v[8:9]
	v_fma_f64 v[8:9], v[12:13], s[12:13], v[8:9]
	v_fma_f64 v[6:7], v[6:7], -0.5, v[2:3]
	v_add_f64 v[2:3], v[2:3], v[38:39]
	v_add_f64 v[10:11], v[10:11], v[22:23]
	v_fma_f64 v[16:17], v[14:15], s[0:1], v[16:17]
	v_fma_f64 v[8:9], v[14:15], s[4:5], v[8:9]
	v_add_f64 v[2:3], v[2:3], v[173:174]
	v_fma_f64 v[112:113], v[4:5], s[18:19], v[16:17]
	v_fma_f64 v[116:117], v[4:5], s[18:19], v[8:9]
	v_add_f64 v[4:5], v[146:147], v[175:176]
	v_add_f64 v[8:9], v[36:37], -v[146:147]
	v_add_f64 v[16:17], v[179:180], -v[175:176]
	v_add_f64 v[2:3], v[2:3], v[177:178]
	v_fma_f64 v[4:5], v[4:5], -0.5, v[0:1]
	v_add_f64 v[0:1], v[0:1], v[36:37]
	v_add_f64 v[8:9], v[8:9], v[16:17]
	;; [unrolled: 1-line block ×3, first 2 shown]
	v_fma_f64 v[24:25], v[14:15], s[12:13], v[4:5]
	v_add_f64 v[0:1], v[0:1], v[146:147]
	v_fma_f64 v[4:5], v[14:15], s[16:17], v[4:5]
	v_fma_f64 v[14:15], v[20:21], s[16:17], v[6:7]
	v_fma_f64 v[6:7], v[20:21], s[12:13], v[6:7]
	v_fma_f64 v[16:17], v[12:13], s[0:1], v[24:25]
	v_add_f64 v[0:1], v[0:1], v[175:176]
	v_fma_f64 v[4:5], v[12:13], s[4:5], v[4:5]
	v_fma_f64 v[12:13], v[18:19], s[4:5], v[14:15]
	v_fma_f64 v[6:7], v[18:19], s[0:1], v[6:7]
	v_fma_f64 v[120:121], v[8:9], s[18:19], v[16:17]
	v_add_f64 v[0:1], v[0:1], v[179:180]
	v_fma_f64 v[173:174], v[8:9], s[18:19], v[4:5]
	v_fma_f64 v[122:123], v[10:11], s[18:19], v[12:13]
	v_fma_f64 v[175:176], v[10:11], s[18:19], v[6:7]
	v_and_b32_e32 v4, 0xff, v183
	v_add_co_u32 v5, s0, s2, v144
	v_add_co_ci_u32_e64 v6, null, s3, 0, s0
	v_lshl_add_u32 v255, v4, 4, v248
	v_sub_co_u32 v4, s0, v5, v152
	v_subrev_co_ci_u32_e64 v5, s0, 0, v6, s0
	ds_write_b128 v249, v[165:168] offset:1456
	ds_write_b128 v249, v[169:172] offset:1664
	;; [unrolled: 1-line block ×8, first 2 shown]
	s_waitcnt lgkmcnt(0)
	s_barrier
	buffer_gl0_inv
	s_clause 0x1
	global_load_dwordx4 v[116:119], v[4:5], off offset:832
	global_load_dwordx4 v[120:123], v[4:5], off offset:848
	v_lshlrev_b32_e32 v0, 5, v148
	s_clause 0x1
	global_load_dwordx4 v[112:115], v0, s[2:3] offset:832
	global_load_dwordx4 v[124:127], v0, s[2:3] offset:848
	ds_read_b128 v[0:3], v249 offset:1040
	ds_read_b128 v[168:171], v249 offset:832
	;; [unrolled: 1-line block ×4, first 2 shown]
	s_mov_b32 s0, 0xe8584caa
	s_mov_b32 s1, 0x3febb67a
	s_waitcnt vmcnt(3) lgkmcnt(3)
	v_mul_f64 v[4:5], v[2:3], v[118:119]
	v_mul_f64 v[6:7], v[0:1], v[118:119]
	v_fma_f64 v[4:5], v[0:1], v[116:117], -v[4:5]
	v_fma_f64 v[6:7], v[2:3], v[116:117], v[6:7]
	s_waitcnt vmcnt(2) lgkmcnt(1)
	v_mul_f64 v[0:1], v[148:149], v[122:123]
	v_mul_f64 v[2:3], v[146:147], v[122:123]
	v_fma_f64 v[8:9], v[146:147], v[120:121], -v[0:1]
	v_fma_f64 v[10:11], v[148:149], v[120:121], v[2:3]
	ds_read_b128 v[0:3], v249 offset:1248
	ds_read_b128 v[157:160], v249 offset:1456
	s_waitcnt vmcnt(1) lgkmcnt(1)
	v_mul_f64 v[12:13], v[2:3], v[114:115]
	v_add_f64 v[176:177], v[4:5], v[8:9]
	v_fma_f64 v[12:13], v[0:1], v[112:113], -v[12:13]
	v_mul_f64 v[0:1], v[0:1], v[114:115]
	v_fma_f64 v[14:15], v[2:3], v[112:113], v[0:1]
	s_waitcnt vmcnt(0)
	v_mul_f64 v[0:1], v[155:156], v[126:127]
	v_fma_f64 v[16:17], v[153:154], v[124:125], -v[0:1]
	v_mul_f64 v[0:1], v[153:154], v[126:127]
	v_fma_f64 v[18:19], v[155:156], v[124:125], v[0:1]
	v_lshlrev_b32_e32 v0, 5, v145
	s_clause 0x1
	global_load_dwordx4 v[148:151], v0, s[2:3] offset:832
	global_load_dwordx4 v[144:147], v0, s[2:3] offset:848
	s_waitcnt vmcnt(1) lgkmcnt(0)
	v_mul_f64 v[0:1], v[159:160], v[150:151]
	v_fma_f64 v[20:21], v[157:158], v[148:149], -v[0:1]
	v_mul_f64 v[0:1], v[157:158], v[150:151]
	v_fma_f64 v[22:23], v[159:160], v[148:149], v[0:1]
	ds_read_b128 v[0:3], v249 offset:2496
	ds_read_b128 v[164:167], v249 offset:2704
	s_waitcnt vmcnt(0) lgkmcnt(1)
	v_mul_f64 v[24:25], v[2:3], v[146:147]
	v_fma_f64 v[24:25], v[0:1], v[144:145], -v[24:25]
	v_mul_f64 v[0:1], v[0:1], v[146:147]
	v_fma_f64 v[26:27], v[2:3], v[144:145], v[0:1]
	v_add_nc_u32_e32 v0, 0x4e0, v152
	s_clause 0x1
	global_load_dwordx4 v[160:163], v0, s[2:3] offset:832
	global_load_dwordx4 v[156:159], v0, s[2:3] offset:848
	ds_read_b128 v[0:3], v249 offset:1664
	ds_read_b128 v[172:175], v249 offset:1872
	s_waitcnt vmcnt(1) lgkmcnt(1)
	v_mul_f64 v[28:29], v[2:3], v[162:163]
	v_fma_f64 v[28:29], v[0:1], v[160:161], -v[28:29]
	v_mul_f64 v[0:1], v[0:1], v[162:163]
	v_fma_f64 v[30:31], v[2:3], v[160:161], v[0:1]
	s_waitcnt vmcnt(0)
	v_mul_f64 v[0:1], v[166:167], v[158:159]
	v_fma_f64 v[32:33], v[164:165], v[156:157], -v[0:1]
	v_mul_f64 v[0:1], v[164:165], v[158:159]
	v_fma_f64 v[34:35], v[166:167], v[156:157], v[0:1]
	v_add_nc_u32_e32 v0, 0x680, v152
	s_clause 0x1
	global_load_dwordx4 v[164:167], v0, s[2:3] offset:832
	global_load_dwordx4 v[152:155], v0, s[2:3] offset:848
	s_mov_b32 s3, 0xbfebb67a
	s_mov_b32 s2, s0
	s_waitcnt vmcnt(1) lgkmcnt(0)
	v_mul_f64 v[0:1], v[174:175], v[166:167]
	v_fma_f64 v[36:37], v[172:173], v[164:165], -v[0:1]
	v_mul_f64 v[0:1], v[172:173], v[166:167]
	v_fma_f64 v[38:39], v[174:175], v[164:165], v[0:1]
	ds_read_b128 v[0:3], v249 offset:2912
	s_waitcnt vmcnt(0) lgkmcnt(0)
	v_mul_f64 v[172:173], v[2:3], v[154:155]
	v_fma_f64 v[224:225], v[0:1], v[152:153], -v[172:173]
	v_mul_f64 v[0:1], v[0:1], v[154:155]
	v_fma_f64 v[220:221], v[2:3], v[152:153], v[0:1]
	ds_read_b128 v[0:3], v249
	ds_read_b128 v[172:175], v249 offset:208
	s_waitcnt lgkmcnt(1)
	v_fma_f64 v[178:179], v[176:177], -0.5, v[0:1]
	v_add_f64 v[176:177], v[6:7], v[10:11]
	v_add_f64 v[0:1], v[0:1], v[4:5]
	v_add_f64 v[4:5], v[4:5], -v[8:9]
	v_fma_f64 v[182:183], v[176:177], -0.5, v[2:3]
	v_add_f64 v[2:3], v[2:3], v[6:7]
	v_add_f64 v[6:7], v[6:7], -v[10:11]
	v_add_f64 v[0:1], v[0:1], v[8:9]
	s_waitcnt lgkmcnt(0)
	v_add_f64 v[8:9], v[174:175], v[14:15]
	v_add_f64 v[2:3], v[2:3], v[10:11]
	v_fma_f64 v[176:177], v[6:7], s[0:1], v[178:179]
	v_fma_f64 v[180:181], v[6:7], s[2:3], v[178:179]
	;; [unrolled: 1-line block ×4, first 2 shown]
	v_add_f64 v[4:5], v[12:13], v[16:17]
	v_add_f64 v[6:7], v[14:15], v[18:19]
	v_add_f64 v[14:15], v[14:15], -v[18:19]
	v_add_f64 v[186:187], v[8:9], v[18:19]
	v_add_f64 v[8:9], v[12:13], -v[16:17]
	;; [unrolled: 2-line block ×3, first 2 shown]
	v_fma_f64 v[4:5], v[4:5], -0.5, v[172:173]
	v_fma_f64 v[6:7], v[6:7], -0.5, v[174:175]
	ds_read_b128 v[172:175], v249 offset:416
	ds_read_b128 v[196:199], v249 offset:624
	ds_write_b128 v249, v[0:3]
	v_add_f64 v[184:185], v[10:11], v[16:17]
	s_waitcnt lgkmcnt(2)
	v_add_f64 v[10:11], v[172:173], v[20:21]
	v_fma_f64 v[188:189], v[14:15], s[0:1], v[4:5]
	v_fma_f64 v[192:193], v[14:15], s[2:3], v[4:5]
	;; [unrolled: 1-line block ×4, first 2 shown]
	v_add_f64 v[4:5], v[20:21], v[24:25]
	v_add_f64 v[6:7], v[22:23], v[26:27]
	;; [unrolled: 1-line block ×4, first 2 shown]
	s_waitcnt lgkmcnt(1)
	v_add_f64 v[10:11], v[196:197], v[28:29]
	v_fma_f64 v[4:5], v[4:5], -0.5, v[172:173]
	v_fma_f64 v[6:7], v[6:7], -0.5, v[174:175]
	v_add_f64 v[202:203], v[8:9], v[26:27]
	v_add_f64 v[8:9], v[20:21], -v[24:25]
	v_fma_f64 v[204:205], v[12:13], s[0:1], v[4:5]
	v_fma_f64 v[208:209], v[12:13], s[2:3], v[4:5]
	v_add_f64 v[4:5], v[28:29], v[32:33]
	v_fma_f64 v[206:207], v[8:9], s[2:3], v[6:7]
	v_fma_f64 v[210:211], v[8:9], s[0:1], v[6:7]
	v_add_f64 v[6:7], v[30:31], v[34:35]
	v_add_f64 v[8:9], v[198:199], v[30:31]
	v_add_f64 v[12:13], v[30:31], -v[34:35]
	v_fma_f64 v[4:5], v[4:5], -0.5, v[196:197]
	v_add_f64 v[196:197], v[10:11], v[32:33]
	v_add_f64 v[10:11], v[168:169], v[36:37]
	v_fma_f64 v[6:7], v[6:7], -0.5, v[198:199]
	v_add_f64 v[198:199], v[8:9], v[34:35]
	v_add_f64 v[8:9], v[28:29], -v[32:33]
	v_fma_f64 v[212:213], v[12:13], s[0:1], v[4:5]
	v_fma_f64 v[216:217], v[12:13], s[2:3], v[4:5]
	v_add_f64 v[4:5], v[36:37], v[224:225]
	v_add_f64 v[12:13], v[38:39], -v[220:221]
	v_fma_f64 v[214:215], v[8:9], s[2:3], v[6:7]
	v_fma_f64 v[218:219], v[8:9], s[0:1], v[6:7]
	v_add_f64 v[6:7], v[38:39], v[220:221]
	v_add_f64 v[8:9], v[170:171], v[38:39]
	v_fma_f64 v[4:5], v[4:5], -0.5, v[168:169]
	v_fma_f64 v[6:7], v[6:7], -0.5, v[170:171]
	v_add_f64 v[222:223], v[8:9], v[220:221]
	v_add_f64 v[8:9], v[36:37], -v[224:225]
	v_add_f64 v[220:221], v[10:11], v[224:225]
	ds_write_b128 v252, v[184:187] offset:208
	ds_write_b128 v252, v[200:203] offset:416
	;; [unrolled: 1-line block ×12, first 2 shown]
	v_fma_f64 v[168:169], v[12:13], s[0:1], v[4:5]
	v_fma_f64 v[170:171], v[8:9], s[2:3], v[6:7]
	;; [unrolled: 1-line block ×4, first 2 shown]
	s_add_u32 s2, s6, 0xc30
	s_addc_u32 s3, s7, 0
	ds_write_b128 v249, v[168:171] offset:1872
	ds_write_b128 v249, v[172:175] offset:2912
	s_waitcnt lgkmcnt(0)
	s_barrier
	buffer_gl0_inv
	s_clause 0x1
	global_load_dwordx4 v[0:3], v245, s[2:3]
	global_load_dwordx4 v[176:179], v245, s[2:3] offset:240
	ds_read_b128 v[180:183], v249
	ds_read_b128 v[184:187], v249 offset:240
	s_waitcnt vmcnt(1) lgkmcnt(1)
	v_mul_f64 v[4:5], v[182:183], v[2:3]
	v_mul_f64 v[2:3], v[180:181], v[2:3]
	v_fma_f64 v[180:181], v[180:181], v[0:1], -v[4:5]
	v_fma_f64 v[182:183], v[182:183], v[0:1], v[2:3]
	s_waitcnt vmcnt(0) lgkmcnt(0)
	v_mul_f64 v[0:1], v[186:187], v[178:179]
	v_mul_f64 v[2:3], v[184:185], v[178:179]
	v_fma_f64 v[0:1], v[184:185], v[176:177], -v[0:1]
	v_fma_f64 v[2:3], v[186:187], v[176:177], v[2:3]
	s_clause 0x1
	global_load_dwordx4 v[176:179], v245, s[2:3] offset:480
	global_load_dwordx4 v[184:187], v245, s[2:3] offset:720
	ds_read_b128 v[188:191], v249 offset:480
	ds_read_b128 v[192:195], v249 offset:720
	s_waitcnt vmcnt(1) lgkmcnt(1)
	v_mul_f64 v[4:5], v[190:191], v[178:179]
	v_mul_f64 v[6:7], v[188:189], v[178:179]
	v_fma_f64 v[188:189], v[188:189], v[176:177], -v[4:5]
	v_fma_f64 v[190:191], v[190:191], v[176:177], v[6:7]
	s_waitcnt vmcnt(0) lgkmcnt(0)
	v_mul_f64 v[4:5], v[194:195], v[186:187]
	v_mul_f64 v[6:7], v[192:193], v[186:187]
	v_fma_f64 v[192:193], v[192:193], v[184:185], -v[4:5]
	v_fma_f64 v[194:195], v[194:195], v[184:185], v[6:7]
	s_clause 0x1
	global_load_dwordx4 v[176:179], v245, s[2:3] offset:960
	global_load_dwordx4 v[184:187], v245, s[2:3] offset:1200
	ds_read_b128 v[196:199], v249 offset:960
	;; [unrolled: 15-line block ×3, first 2 shown]
	ds_read_b128 v[208:211], v249 offset:1680
	s_waitcnt vmcnt(1) lgkmcnt(1)
	v_mul_f64 v[4:5], v[206:207], v[178:179]
	v_mul_f64 v[6:7], v[204:205], v[178:179]
	v_fma_f64 v[204:205], v[204:205], v[176:177], -v[4:5]
	v_fma_f64 v[206:207], v[206:207], v[176:177], v[6:7]
	global_load_dwordx4 v[176:179], v245, s[2:3] offset:1920
	s_waitcnt vmcnt(1) lgkmcnt(0)
	v_mul_f64 v[4:5], v[210:211], v[186:187]
	v_mul_f64 v[6:7], v[208:209], v[186:187]
	v_fma_f64 v[208:209], v[208:209], v[184:185], -v[4:5]
	v_fma_f64 v[210:211], v[210:211], v[184:185], v[6:7]
	ds_read_b128 v[184:187], v249 offset:1920
	ds_read_b128 v[212:215], v249 offset:2160
	s_waitcnt vmcnt(0) lgkmcnt(1)
	v_mul_f64 v[4:5], v[186:187], v[178:179]
	v_mul_f64 v[6:7], v[184:185], v[178:179]
	v_add_co_u32 v178, s0, s2, v245
	v_add_co_ci_u32_e64 v179, null, s3, 0, s0
	v_fma_f64 v[184:185], v[184:185], v[176:177], -v[4:5]
	v_fma_f64 v[186:187], v[186:187], v[176:177], v[6:7]
	v_add_co_u32 v176, s0, 0x800, v178
	v_add_co_ci_u32_e64 v177, s0, 0, v179, s0
	s_clause 0x1
	global_load_dwordx4 v[216:219], v[176:177], off offset:112
	global_load_dwordx4 v[220:223], v[176:177], off offset:352
	s_waitcnt vmcnt(1) lgkmcnt(0)
	v_mul_f64 v[4:5], v[214:215], v[218:219]
	v_mul_f64 v[6:7], v[212:213], v[218:219]
	v_fma_f64 v[212:213], v[212:213], v[216:217], -v[4:5]
	v_fma_f64 v[214:215], v[214:215], v[216:217], v[6:7]
	ds_read_b128 v[216:219], v249 offset:2400
	ds_read_b128 v[224:227], v249 offset:2640
	s_waitcnt vmcnt(0) lgkmcnt(1)
	v_mul_f64 v[4:5], v[218:219], v[222:223]
	v_mul_f64 v[6:7], v[216:217], v[222:223]
	v_fma_f64 v[216:217], v[216:217], v[220:221], -v[4:5]
	v_fma_f64 v[218:219], v[218:219], v[220:221], v[6:7]
	s_clause 0x1
	global_load_dwordx4 v[220:223], v[176:177], off offset:592
	global_load_dwordx4 v[228:231], v[176:177], off offset:832
	ds_read_b128 v[237:240], v249 offset:2880
	s_waitcnt vmcnt(1) lgkmcnt(1)
	v_mul_f64 v[4:5], v[226:227], v[222:223]
	v_mul_f64 v[6:7], v[224:225], v[222:223]
	v_fma_f64 v[222:223], v[224:225], v[220:221], -v[4:5]
	v_fma_f64 v[224:225], v[226:227], v[220:221], v[6:7]
	s_waitcnt vmcnt(0) lgkmcnt(0)
	v_mul_f64 v[4:5], v[239:240], v[230:231]
	v_mul_f64 v[6:7], v[237:238], v[230:231]
	v_fma_f64 v[226:227], v[237:238], v[228:229], -v[4:5]
	v_fma_f64 v[228:229], v[239:240], v[228:229], v[6:7]
	ds_write_b128 v249, v[180:183]
	ds_write_b128 v249, v[0:3] offset:240
	ds_write_b128 v249, v[188:191] offset:480
	;; [unrolled: 1-line block ×12, first 2 shown]
	s_and_saveexec_b32 s0, vcc_lo
	s_cbranch_execz .LBB0_9
; %bb.8:
	s_clause 0x9
	global_load_dwordx4 v[0:3], v[178:179], off offset:208
	global_load_dwordx4 v[180:183], v[178:179], off offset:448
	global_load_dwordx4 v[184:187], v[178:179], off offset:688
	global_load_dwordx4 v[188:191], v[178:179], off offset:928
	global_load_dwordx4 v[192:195], v[178:179], off offset:1168
	global_load_dwordx4 v[196:199], v[178:179], off offset:1408
	global_load_dwordx4 v[200:203], v[178:179], off offset:1648
	global_load_dwordx4 v[204:207], v[178:179], off offset:1888
	global_load_dwordx4 v[208:211], v[176:177], off offset:80
	global_load_dwordx4 v[212:215], v[176:177], off offset:560
	v_or_b32_e32 v4, 0x940, v245
	global_load_dwordx4 v[216:219], v4, s[2:3]
	v_or_b32_e32 v4, 0xb20, v245
	s_clause 0x1
	global_load_dwordx4 v[220:223], v4, s[2:3]
	global_load_dwordx4 v[176:179], v[176:177], off offset:1040
	ds_read_b128 v[224:227], v252 offset:208
	ds_read_b128 v[228:231], v252 offset:448
	;; [unrolled: 1-line block ×3, first 2 shown]
	s_waitcnt vmcnt(12) lgkmcnt(2)
	v_mul_f64 v[4:5], v[226:227], v[2:3]
	v_mul_f64 v[2:3], v[224:225], v[2:3]
	s_waitcnt vmcnt(11) lgkmcnt(1)
	v_mul_f64 v[6:7], v[230:231], v[182:183]
	v_mul_f64 v[8:9], v[228:229], v[182:183]
	v_fma_f64 v[224:225], v[224:225], v[0:1], -v[4:5]
	v_fma_f64 v[226:227], v[226:227], v[0:1], v[2:3]
	ds_read_b128 v[0:3], v252 offset:928
	s_waitcnt vmcnt(10) lgkmcnt(1)
	v_mul_f64 v[4:5], v[239:240], v[186:187]
	v_mul_f64 v[10:11], v[237:238], v[186:187]
	v_fma_f64 v[228:229], v[228:229], v[180:181], -v[6:7]
	v_fma_f64 v[230:231], v[230:231], v[180:181], v[8:9]
	ds_read_b128 v[180:183], v252 offset:1168
	;; [unrolled: 6-line block ×8, first 2 shown]
	ds_read_b128 v[241:244], v252 offset:2848
	s_waitcnt vmcnt(2) lgkmcnt(2)
	v_mul_f64 v[8:9], v[202:203], v[218:219]
	v_fma_f64 v[196:197], v[196:197], v[208:209], -v[4:5]
	v_fma_f64 v[198:199], v[198:199], v[208:209], v[10:11]
	s_waitcnt lgkmcnt(1)
	v_mul_f64 v[4:5], v[206:207], v[214:215]
	v_mul_f64 v[6:7], v[204:205], v[214:215]
	;; [unrolled: 1-line block ×3, first 2 shown]
	ds_read_b128 v[208:211], v252 offset:3088
	v_fma_f64 v[200:201], v[200:201], v[216:217], -v[8:9]
	v_fma_f64 v[204:205], v[204:205], v[212:213], -v[4:5]
	v_fma_f64 v[206:207], v[206:207], v[212:213], v[6:7]
	s_waitcnt vmcnt(1) lgkmcnt(1)
	v_mul_f64 v[4:5], v[243:244], v[222:223]
	v_mul_f64 v[6:7], v[241:242], v[222:223]
	v_fma_f64 v[202:203], v[202:203], v[216:217], v[10:11]
	s_waitcnt vmcnt(0) lgkmcnt(0)
	v_mul_f64 v[8:9], v[210:211], v[178:179]
	v_mul_f64 v[10:11], v[208:209], v[178:179]
	v_fma_f64 v[212:213], v[241:242], v[220:221], -v[4:5]
	v_fma_f64 v[214:215], v[243:244], v[220:221], v[6:7]
	v_fma_f64 v[208:209], v[208:209], v[176:177], -v[8:9]
	v_fma_f64 v[210:211], v[210:211], v[176:177], v[10:11]
	ds_write_b128 v252, v[224:227] offset:208
	ds_write_b128 v252, v[228:231] offset:448
	;; [unrolled: 1-line block ×13, first 2 shown]
.LBB0_9:
	s_or_b32 exec_lo, exec_lo, s0
	s_waitcnt lgkmcnt(0)
	s_barrier
	buffer_gl0_inv
	ds_read_b128 v[220:223], v249
	ds_read_b128 v[224:227], v249 offset:240
	ds_read_b128 v[212:215], v249 offset:480
	;; [unrolled: 1-line block ×12, first 2 shown]
	s_and_saveexec_b32 s0, vcc_lo
	s_cbranch_execz .LBB0_11
; %bb.10:
	ds_read_b128 v[168:171], v252 offset:208
	ds_read_b128 v[172:175], v252 offset:448
	;; [unrolled: 1-line block ×13, first 2 shown]
.LBB0_11:
	s_or_b32 exec_lo, exec_lo, s0
	s_waitcnt lgkmcnt(11)
	v_add_f64 v[0:1], v[220:221], v[224:225]
	v_add_f64 v[2:3], v[222:223], v[226:227]
	s_waitcnt lgkmcnt(0)
	v_add_f64 v[6:7], v[226:227], -v[230:231]
	s_mov_b32 s18, 0x4267c47c
	s_mov_b32 s20, 0x42a4c3d2
	s_mov_b32 s22, 0x66966769
	s_mov_b32 s34, 0x2ef20147
	s_mov_b32 s38, 0x24c2f84
	s_mov_b32 s42, 0x4bc48dbf
	s_mov_b32 s19, 0xbfddbe06
	s_mov_b32 s21, 0xbfea55e2
	s_mov_b32 s23, 0xbfefc445
	s_mov_b32 s35, 0xbfedeba7
	s_mov_b32 s39, 0xbfe5384d
	s_mov_b32 s43, 0xbfcea1e5
	v_add_f64 v[4:5], v[224:225], -v[228:229]
	s_mov_b32 s0, 0xe00740e9
	s_mov_b32 s2, 0x1ea71119
	;; [unrolled: 1-line block ×6, first 2 shown]
	v_add_f64 v[0:1], v[0:1], v[212:213]
	v_add_f64 v[2:3], v[2:3], v[214:215]
	v_mul_f64 v[8:9], v[6:7], s[18:19]
	v_mul_f64 v[16:17], v[6:7], s[20:21]
	;; [unrolled: 1-line block ×4, first 2 shown]
	s_mov_b32 s1, 0x3fec55a7
	s_mov_b32 s3, 0x3fe22d96
	s_mov_b32 s17, 0x3fbedb7d
	s_mov_b32 s25, 0xbfd6b1d8
	s_mov_b32 s27, 0xbfe7f3cc
	s_mov_b32 s29, 0xbfef11f4
	s_mov_b32 s13, 0x3fddbe06
	s_mov_b32 s12, s18
	s_mov_b32 s5, 0x3fea55e2
	s_mov_b32 s4, s20
	s_mov_b32 s31, 0x3fefc445
	s_mov_b32 s30, s22
	s_mov_b32 s45, 0x3fedeba7
	s_mov_b32 s44, s34
	s_mov_b32 s37, 0x3fe5384d
	s_mov_b32 s36, s38
	v_add_f64 v[0:1], v[0:1], v[204:205]
	v_add_f64 v[2:3], v[2:3], v[206:207]
	s_mov_b32 s41, 0x3fcea1e5
	s_mov_b32 s40, s42
	v_add_f64 v[241:242], v[190:191], -v[194:195]
	v_add_nc_u32_e32 v251, 0x340, v249
	s_barrier
	buffer_gl0_inv
	v_add_f64 v[0:1], v[0:1], v[196:197]
	v_add_f64 v[2:3], v[2:3], v[198:199]
	;; [unrolled: 1-line block ×20, first 2 shown]
	v_mul_f64 v[224:225], v[6:7], s[38:39]
	v_mul_f64 v[6:7], v[6:7], s[42:43]
	v_fma_f64 v[10:11], v[0:1], s[0:1], v[8:9]
	v_mul_f64 v[12:13], v[2:3], s[0:1]
	v_fma_f64 v[8:9], v[0:1], s[0:1], -v[8:9]
	v_fma_f64 v[18:19], v[0:1], s[2:3], v[16:17]
	v_mul_f64 v[20:21], v[2:3], s[2:3]
	v_fma_f64 v[16:17], v[0:1], s[2:3], -v[16:17]
	;; [unrolled: 3-line block ×6, first 2 shown]
	v_add_f64 v[6:7], v[214:215], v[218:219]
	v_add_f64 v[214:215], v[214:215], -v[218:219]
	v_add_f64 v[10:11], v[220:221], v[10:11]
	v_fma_f64 v[14:15], v[4:5], s[12:13], v[12:13]
	v_fma_f64 v[12:13], v[4:5], s[18:19], v[12:13]
	v_add_f64 v[8:9], v[220:221], v[8:9]
	v_fma_f64 v[22:23], v[4:5], s[4:5], v[20:21]
	v_fma_f64 v[20:21], v[4:5], s[20:21], v[20:21]
	;; [unrolled: 3-line block ×6, first 2 shown]
	v_add_f64 v[4:5], v[212:213], v[216:217]
	v_add_f64 v[212:213], v[212:213], -v[216:217]
	v_mul_f64 v[216:217], v[214:215], s[20:21]
	v_add_f64 v[34:35], v[220:221], v[34:35]
	v_add_f64 v[32:33], v[220:221], v[32:33]
	;; [unrolled: 1-line block ×18, first 2 shown]
	v_fma_f64 v[218:219], v[4:5], s[2:3], v[216:217]
	v_fma_f64 v[216:217], v[4:5], s[2:3], -v[216:217]
	v_add_f64 v[10:11], v[218:219], v[10:11]
	v_mul_f64 v[218:219], v[6:7], s[2:3]
	v_add_f64 v[8:9], v[216:217], v[8:9]
	v_fma_f64 v[216:217], v[212:213], s[20:21], v[218:219]
	v_fma_f64 v[220:221], v[212:213], s[4:5], v[218:219]
	v_add_f64 v[12:13], v[216:217], v[12:13]
	v_mul_f64 v[216:217], v[214:215], s[34:35]
	v_add_f64 v[14:15], v[220:221], v[14:15]
	v_fma_f64 v[218:219], v[4:5], s[24:25], v[216:217]
	v_fma_f64 v[216:217], v[4:5], s[24:25], -v[216:217]
	v_add_f64 v[18:19], v[218:219], v[18:19]
	v_mul_f64 v[218:219], v[6:7], s[24:25]
	v_add_f64 v[16:17], v[216:217], v[16:17]
	v_fma_f64 v[216:217], v[212:213], s[34:35], v[218:219]
	v_fma_f64 v[220:221], v[212:213], s[44:45], v[218:219]
	v_add_f64 v[20:21], v[216:217], v[20:21]
	v_mul_f64 v[216:217], v[214:215], s[42:43]
	v_add_f64 v[22:23], v[220:221], v[22:23]
	;; [unrolled: 10-line block ×3, first 2 shown]
	v_fma_f64 v[218:219], v[4:5], s[26:27], v[216:217]
	v_fma_f64 v[216:217], v[4:5], s[26:27], -v[216:217]
	v_add_f64 v[34:35], v[218:219], v[34:35]
	v_mul_f64 v[218:219], v[6:7], s[26:27]
	v_add_f64 v[32:33], v[216:217], v[32:33]
	v_fma_f64 v[216:217], v[212:213], s[36:37], v[218:219]
	v_fma_f64 v[220:221], v[212:213], s[38:39], v[218:219]
	v_add_f64 v[36:37], v[216:217], v[36:37]
	v_mul_f64 v[216:217], v[214:215], s[30:31]
	v_mul_f64 v[214:215], v[214:215], s[12:13]
	v_add_f64 v[38:39], v[220:221], v[38:39]
	v_mul_f64 v[220:221], v[6:7], s[16:17]
	v_mul_f64 v[6:7], v[6:7], s[0:1]
	v_fma_f64 v[218:219], v[4:5], s[16:17], v[216:217]
	v_fma_f64 v[216:217], v[4:5], s[16:17], -v[216:217]
	v_fma_f64 v[222:223], v[212:213], s[22:23], v[220:221]
	v_fma_f64 v[220:221], v[212:213], s[30:31], v[220:221]
	v_add_f64 v[218:219], v[218:219], v[226:227]
	v_add_f64 v[216:217], v[216:217], v[224:225]
	v_fma_f64 v[224:225], v[4:5], s[0:1], v[214:215]
	v_fma_f64 v[4:5], v[4:5], s[0:1], -v[214:215]
	v_fma_f64 v[226:227], v[212:213], s[18:19], v[6:7]
	v_add_f64 v[220:221], v[220:221], v[228:229]
	v_add_f64 v[222:223], v[222:223], v[230:231]
	;; [unrolled: 1-line block ×4, first 2 shown]
	v_fma_f64 v[4:5], v[212:213], s[12:13], v[6:7]
	v_add_f64 v[6:7], v[206:207], v[210:211]
	v_add_f64 v[206:207], v[206:207], -v[210:211]
	v_add_f64 v[237:238], v[188:189], -v[192:193]
	v_add_f64 v[226:227], v[226:227], v[239:240]
	v_add_f64 v[2:3], v[4:5], v[2:3]
	;; [unrolled: 1-line block ×3, first 2 shown]
	v_add_f64 v[204:205], v[204:205], -v[208:209]
	v_mul_f64 v[208:209], v[206:207], s[22:23]
	v_fma_f64 v[210:211], v[4:5], s[16:17], v[208:209]
	v_fma_f64 v[208:209], v[4:5], s[16:17], -v[208:209]
	v_add_f64 v[10:11], v[210:211], v[10:11]
	v_mul_f64 v[210:211], v[6:7], s[16:17]
	v_add_f64 v[8:9], v[208:209], v[8:9]
	v_fma_f64 v[208:209], v[204:205], s[22:23], v[210:211]
	v_fma_f64 v[212:213], v[204:205], s[30:31], v[210:211]
	v_add_f64 v[12:13], v[208:209], v[12:13]
	v_mul_f64 v[208:209], v[206:207], s[42:43]
	v_add_f64 v[14:15], v[212:213], v[14:15]
	v_fma_f64 v[210:211], v[4:5], s[28:29], v[208:209]
	v_fma_f64 v[208:209], v[4:5], s[28:29], -v[208:209]
	v_add_f64 v[18:19], v[210:211], v[18:19]
	v_mul_f64 v[210:211], v[6:7], s[28:29]
	v_add_f64 v[16:17], v[208:209], v[16:17]
	v_fma_f64 v[208:209], v[204:205], s[42:43], v[210:211]
	v_fma_f64 v[212:213], v[204:205], s[40:41], v[210:211]
	v_add_f64 v[20:21], v[208:209], v[20:21]
	v_mul_f64 v[208:209], v[206:207], s[44:45]
	v_add_f64 v[22:23], v[212:213], v[22:23]
	;; [unrolled: 10-line block ×3, first 2 shown]
	v_fma_f64 v[210:211], v[4:5], s[0:1], v[208:209]
	v_fma_f64 v[208:209], v[4:5], s[0:1], -v[208:209]
	v_add_f64 v[34:35], v[210:211], v[34:35]
	v_mul_f64 v[210:211], v[6:7], s[0:1]
	v_add_f64 v[32:33], v[208:209], v[32:33]
	v_fma_f64 v[208:209], v[204:205], s[12:13], v[210:211]
	v_fma_f64 v[212:213], v[204:205], s[18:19], v[210:211]
	v_add_f64 v[36:37], v[208:209], v[36:37]
	v_mul_f64 v[208:209], v[206:207], s[20:21]
	v_mul_f64 v[206:207], v[206:207], s[38:39]
	v_add_f64 v[38:39], v[212:213], v[38:39]
	v_mul_f64 v[212:213], v[6:7], s[2:3]
	v_mul_f64 v[6:7], v[6:7], s[26:27]
	v_fma_f64 v[210:211], v[4:5], s[2:3], v[208:209]
	v_fma_f64 v[208:209], v[4:5], s[2:3], -v[208:209]
	v_fma_f64 v[214:215], v[204:205], s[4:5], v[212:213]
	v_fma_f64 v[212:213], v[204:205], s[20:21], v[212:213]
	v_add_f64 v[210:211], v[210:211], v[218:219]
	v_add_f64 v[208:209], v[208:209], v[216:217]
	v_fma_f64 v[216:217], v[4:5], s[26:27], v[206:207]
	v_fma_f64 v[4:5], v[4:5], s[26:27], -v[206:207]
	v_fma_f64 v[218:219], v[204:205], s[36:37], v[6:7]
	v_add_f64 v[212:213], v[212:213], v[220:221]
	v_add_f64 v[214:215], v[214:215], v[222:223]
	;; [unrolled: 1-line block ×4, first 2 shown]
	v_fma_f64 v[4:5], v[204:205], s[38:39], v[6:7]
	v_add_f64 v[6:7], v[198:199], v[202:203]
	v_add_f64 v[198:199], v[198:199], -v[202:203]
	v_add_f64 v[218:219], v[218:219], v[226:227]
	v_add_f64 v[2:3], v[4:5], v[2:3]
	;; [unrolled: 1-line block ×3, first 2 shown]
	v_add_f64 v[196:197], v[196:197], -v[200:201]
	v_mul_f64 v[200:201], v[198:199], s[34:35]
	v_fma_f64 v[202:203], v[4:5], s[24:25], v[200:201]
	v_fma_f64 v[200:201], v[4:5], s[24:25], -v[200:201]
	v_add_f64 v[10:11], v[202:203], v[10:11]
	v_mul_f64 v[202:203], v[6:7], s[24:25]
	v_add_f64 v[8:9], v[200:201], v[8:9]
	v_fma_f64 v[200:201], v[196:197], s[34:35], v[202:203]
	v_fma_f64 v[204:205], v[196:197], s[44:45], v[202:203]
	v_add_f64 v[12:13], v[200:201], v[12:13]
	v_mul_f64 v[200:201], v[198:199], s[36:37]
	v_add_f64 v[14:15], v[204:205], v[14:15]
	v_fma_f64 v[202:203], v[4:5], s[26:27], v[200:201]
	v_fma_f64 v[200:201], v[4:5], s[26:27], -v[200:201]
	v_add_f64 v[18:19], v[202:203], v[18:19]
	v_mul_f64 v[202:203], v[6:7], s[26:27]
	v_add_f64 v[16:17], v[200:201], v[16:17]
	v_fma_f64 v[200:201], v[196:197], s[36:37], v[202:203]
	v_fma_f64 v[204:205], v[196:197], s[38:39], v[202:203]
	v_add_f64 v[20:21], v[200:201], v[20:21]
	v_mul_f64 v[200:201], v[198:199], s[12:13]
	v_add_f64 v[22:23], v[204:205], v[22:23]
	v_fma_f64 v[202:203], v[4:5], s[0:1], v[200:201]
	v_fma_f64 v[200:201], v[4:5], s[0:1], -v[200:201]
	v_add_f64 v[26:27], v[202:203], v[26:27]
	v_mul_f64 v[202:203], v[6:7], s[0:1]
	v_add_f64 v[24:25], v[200:201], v[24:25]
	v_fma_f64 v[200:201], v[196:197], s[12:13], v[202:203]
	v_fma_f64 v[204:205], v[196:197], s[18:19], v[202:203]
	v_add_f64 v[28:29], v[200:201], v[28:29]
	v_mul_f64 v[200:201], v[198:199], s[22:23]
	v_add_f64 v[30:31], v[204:205], v[30:31]
	v_fma_f64 v[202:203], v[4:5], s[16:17], v[200:201]
	v_fma_f64 v[200:201], v[4:5], s[16:17], -v[200:201]
	v_add_f64 v[34:35], v[202:203], v[34:35]
	v_mul_f64 v[202:203], v[6:7], s[16:17]
	v_add_f64 v[32:33], v[200:201], v[32:33]
	v_fma_f64 v[200:201], v[196:197], s[22:23], v[202:203]
	v_fma_f64 v[204:205], v[196:197], s[30:31], v[202:203]
	v_add_f64 v[36:37], v[200:201], v[36:37]
	v_mul_f64 v[200:201], v[198:199], s[40:41]
	v_mul_f64 v[198:199], v[198:199], s[4:5]
	v_add_f64 v[38:39], v[204:205], v[38:39]
	v_fma_f64 v[202:203], v[4:5], s[28:29], v[200:201]
	v_fma_f64 v[200:201], v[4:5], s[28:29], -v[200:201]
	v_add_f64 v[210:211], v[202:203], v[210:211]
	v_mul_f64 v[202:203], v[6:7], s[28:29]
	v_add_f64 v[208:209], v[200:201], v[208:209]
	v_mul_f64 v[6:7], v[6:7], s[2:3]
	v_fma_f64 v[200:201], v[196:197], s[40:41], v[202:203]
	v_fma_f64 v[204:205], v[196:197], s[42:43], v[202:203]
	v_add_f64 v[212:213], v[200:201], v[212:213]
	v_fma_f64 v[200:201], v[4:5], s[2:3], v[198:199]
	v_fma_f64 v[4:5], v[4:5], s[2:3], -v[198:199]
	v_add_f64 v[214:215], v[204:205], v[214:215]
	v_add_f64 v[224:225], v[200:201], v[216:217]
	;; [unrolled: 1-line block ×3, first 2 shown]
	v_fma_f64 v[4:5], v[196:197], s[4:5], v[6:7]
	v_fma_f64 v[200:201], v[196:197], s[20:21], v[6:7]
	v_add_f64 v[6:7], v[190:191], v[194:195]
	v_add_f64 v[2:3], v[4:5], v[2:3]
	;; [unrolled: 1-line block ×3, first 2 shown]
	v_mul_f64 v[188:189], v[241:242], s[38:39]
	v_add_f64 v[226:227], v[200:201], v[218:219]
	v_fma_f64 v[190:191], v[4:5], s[26:27], v[188:189]
	v_add_f64 v[247:248], v[190:191], v[10:11]
	v_mul_f64 v[10:11], v[6:7], s[26:27]
	v_fma_f64 v[190:191], v[237:238], s[36:37], v[10:11]
	v_add_f64 v[194:195], v[190:191], v[14:15]
	v_fma_f64 v[14:15], v[4:5], s[26:27], -v[188:189]
	v_add_f64 v[243:244], v[14:15], v[8:9]
	v_fma_f64 v[8:9], v[237:238], s[38:39], v[10:11]
	v_add_f64 v[245:246], v[8:9], v[12:13]
	v_mul_f64 v[8:9], v[241:242], s[30:31]
	v_fma_f64 v[10:11], v[4:5], s[16:17], v[8:9]
	v_fma_f64 v[8:9], v[4:5], s[16:17], -v[8:9]
	v_add_f64 v[192:193], v[10:11], v[18:19]
	v_mul_f64 v[10:11], v[6:7], s[16:17]
	v_add_f64 v[190:191], v[8:9], v[16:17]
	v_fma_f64 v[8:9], v[237:238], s[30:31], v[10:11]
	v_fma_f64 v[12:13], v[237:238], s[22:23], v[10:11]
	v_add_f64 v[202:203], v[8:9], v[20:21]
	v_mul_f64 v[8:9], v[241:242], s[20:21]
	v_add_f64 v[188:189], v[12:13], v[22:23]
	v_fma_f64 v[10:11], v[4:5], s[2:3], v[8:9]
	v_fma_f64 v[8:9], v[4:5], s[2:3], -v[8:9]
	v_add_f64 v[200:201], v[10:11], v[26:27]
	v_mul_f64 v[10:11], v[6:7], s[2:3]
	v_add_f64 v[198:199], v[8:9], v[24:25]
	v_fma_f64 v[8:9], v[237:238], s[20:21], v[10:11]
	v_fma_f64 v[12:13], v[237:238], s[4:5], v[10:11]
	v_add_f64 v[239:240], v[8:9], v[28:29]
	v_mul_f64 v[8:9], v[241:242], s[40:41]
	v_add_f64 v[196:197], v[12:13], v[30:31]
	v_fma_f64 v[10:11], v[4:5], s[28:29], v[8:9]
	v_fma_f64 v[8:9], v[4:5], s[28:29], -v[8:9]
	v_add_f64 v[230:231], v[10:11], v[34:35]
	v_mul_f64 v[10:11], v[6:7], s[28:29]
	v_add_f64 v[206:207], v[8:9], v[32:33]
	v_fma_f64 v[8:9], v[237:238], s[40:41], v[10:11]
	v_fma_f64 v[12:13], v[237:238], s[42:43], v[10:11]
	v_add_f64 v[228:229], v[8:9], v[36:37]
	v_mul_f64 v[8:9], v[241:242], s[12:13]
	v_add_f64 v[204:205], v[12:13], v[38:39]
	v_fma_f64 v[10:11], v[4:5], s[0:1], v[8:9]
	v_fma_f64 v[8:9], v[4:5], s[0:1], -v[8:9]
	v_add_f64 v[222:223], v[10:11], v[210:211]
	v_mul_f64 v[10:11], v[6:7], s[0:1]
	v_add_f64 v[218:219], v[8:9], v[208:209]
	v_mul_f64 v[6:7], v[6:7], s[24:25]
	v_fma_f64 v[8:9], v[237:238], s[12:13], v[10:11]
	v_fma_f64 v[12:13], v[237:238], s[18:19], v[10:11]
	v_add_f64 v[220:221], v[8:9], v[212:213]
	v_mul_f64 v[8:9], v[241:242], s[34:35]
	v_add_f64 v[216:217], v[12:13], v[214:215]
	v_add_f64 v[241:242], v[182:183], -v[186:187]
	v_fma_f64 v[10:11], v[4:5], s[24:25], v[8:9]
	v_fma_f64 v[4:5], v[4:5], s[24:25], -v[8:9]
	v_add_f64 v[214:215], v[10:11], v[224:225]
	v_fma_f64 v[10:11], v[237:238], s[44:45], v[6:7]
	v_add_f64 v[210:211], v[4:5], v[0:1]
	v_fma_f64 v[0:1], v[237:238], s[34:35], v[6:7]
	v_add_f64 v[237:238], v[182:183], v[186:187]
	v_add_f64 v[224:225], v[180:181], -v[184:185]
	v_add_f64 v[212:213], v[10:11], v[226:227]
	v_add_f64 v[226:227], v[180:181], v[184:185]
	;; [unrolled: 1-line block ×3, first 2 shown]
	v_mul_f64 v[0:1], v[241:242], s[42:43]
	v_mul_f64 v[6:7], v[237:238], s[2:3]
	v_fma_f64 v[2:3], v[226:227], s[28:29], v[0:1]
	v_fma_f64 v[0:1], v[226:227], s[28:29], -v[0:1]
	v_add_f64 v[184:185], v[2:3], v[247:248]
	v_mul_f64 v[2:3], v[237:238], s[28:29]
	v_add_f64 v[180:181], v[0:1], v[243:244]
	v_fma_f64 v[0:1], v[224:225], s[42:43], v[2:3]
	v_fma_f64 v[4:5], v[224:225], s[40:41], v[2:3]
	v_add_f64 v[182:183], v[0:1], v[245:246]
	v_mul_f64 v[0:1], v[241:242], s[12:13]
	v_add_f64 v[186:187], v[4:5], v[194:195]
	v_fma_f64 v[2:3], v[226:227], s[0:1], v[0:1]
	v_fma_f64 v[0:1], v[226:227], s[0:1], -v[0:1]
	v_add_f64 v[192:193], v[2:3], v[192:193]
	v_mul_f64 v[2:3], v[237:238], s[0:1]
	v_fma_f64 v[4:5], v[224:225], s[18:19], v[2:3]
	v_add_f64 v[194:195], v[4:5], v[188:189]
	v_add_f64 v[188:189], v[0:1], v[190:191]
	v_fma_f64 v[0:1], v[224:225], s[12:13], v[2:3]
	v_add_f64 v[190:191], v[0:1], v[202:203]
	v_mul_f64 v[0:1], v[241:242], s[38:39]
	v_fma_f64 v[2:3], v[226:227], s[26:27], v[0:1]
	v_fma_f64 v[0:1], v[226:227], s[26:27], -v[0:1]
	v_add_f64 v[200:201], v[2:3], v[200:201]
	v_mul_f64 v[2:3], v[237:238], s[26:27]
	v_fma_f64 v[4:5], v[224:225], s[36:37], v[2:3]
	v_add_f64 v[202:203], v[4:5], v[196:197]
	v_add_f64 v[196:197], v[0:1], v[198:199]
	v_fma_f64 v[0:1], v[224:225], s[38:39], v[2:3]
	v_mul_f64 v[4:5], v[241:242], s[4:5]
	v_fma_f64 v[2:3], v[224:225], s[20:21], v[6:7]
	v_add_f64 v[198:199], v[0:1], v[239:240]
	v_fma_f64 v[0:1], v[226:227], s[2:3], v[4:5]
	v_fma_f64 v[4:5], v[226:227], s[2:3], -v[4:5]
	v_add_f64 v[2:3], v[2:3], v[204:205]
	v_add_f64 v[0:1], v[0:1], v[230:231]
	;; [unrolled: 1-line block ×3, first 2 shown]
	v_fma_f64 v[4:5], v[224:225], s[4:5], v[6:7]
	v_add_f64 v[206:207], v[4:5], v[228:229]
	v_mul_f64 v[4:5], v[241:242], s[34:35]
	v_fma_f64 v[6:7], v[226:227], s[24:25], v[4:5]
	v_fma_f64 v[4:5], v[226:227], s[24:25], -v[4:5]
	v_add_f64 v[228:229], v[6:7], v[222:223]
	v_mul_f64 v[6:7], v[237:238], s[24:25]
	v_fma_f64 v[8:9], v[224:225], s[44:45], v[6:7]
	v_add_f64 v[230:231], v[8:9], v[216:217]
	v_add_f64 v[216:217], v[4:5], v[218:219]
	v_fma_f64 v[4:5], v[224:225], s[34:35], v[6:7]
	v_add_f64 v[218:219], v[4:5], v[220:221]
	v_mul_f64 v[4:5], v[241:242], s[30:31]
	v_fma_f64 v[6:7], v[226:227], s[16:17], v[4:5]
	v_fma_f64 v[4:5], v[226:227], s[16:17], -v[4:5]
	v_add_f64 v[220:221], v[6:7], v[214:215]
	v_mul_f64 v[6:7], v[237:238], s[16:17]
	v_add_f64 v[210:211], v[4:5], v[210:211]
	v_fma_f64 v[8:9], v[224:225], s[22:23], v[6:7]
	v_fma_f64 v[4:5], v[224:225], s[30:31], v[6:7]
	v_add_f64 v[222:223], v[8:9], v[212:213]
	v_add_f64 v[212:213], v[4:5], v[208:209]
	ds_write_b128 v250, v[176:179]
	ds_write_b128 v250, v[184:187] offset:16
	ds_write_b128 v250, v[192:195] offset:32
	;; [unrolled: 1-line block ×12, first 2 shown]
	s_and_saveexec_b32 s33, vcc_lo
	s_cbranch_execz .LBB0_13
; %bb.12:
	v_add_f64 v[0:1], v[170:171], v[174:175]
	v_add_f64 v[2:3], v[168:169], v[172:173]
	v_add_f64 v[4:5], v[172:173], -v[72:73]
	v_add_f64 v[6:7], v[174:175], -v[74:75]
	;; [unrolled: 1-line block ×3, first 2 shown]
	v_add_f64 v[10:11], v[174:175], v[74:75]
	v_add_f64 v[12:13], v[70:71], -v[82:83]
	v_add_f64 v[16:17], v[172:173], v[72:73]
	v_add_f64 v[176:177], v[106:107], v[110:111]
	v_add_f64 v[20:21], v[106:107], -v[110:111]
	v_add_f64 v[22:23], v[92:93], -v[100:101]
	v_add_f64 v[24:25], v[94:95], v[102:103]
	v_add_f64 v[26:27], v[92:93], v[100:101]
	v_add_f64 v[28:29], v[94:95], -v[102:103]
	;; [unrolled: 4-line block ×3, first 2 shown]
	v_add_f64 v[38:39], v[76:77], -v[88:89]
	v_add_f64 v[178:179], v[104:105], -v[108:109]
	v_add_f64 v[0:1], v[0:1], v[70:71]
	v_add_f64 v[2:3], v[2:3], v[68:69]
	v_mul_f64 v[14:15], v[4:5], s[42:43]
	v_mul_f64 v[18:19], v[6:7], s[42:43]
	;; [unrolled: 1-line block ×18, first 2 shown]
	v_add_f64 v[0:1], v[0:1], v[78:79]
	v_add_f64 v[2:3], v[2:3], v[76:77]
	v_mul_f64 v[241:242], v[178:179], s[42:43]
	v_add_f64 v[0:1], v[0:1], v[86:87]
	v_add_f64 v[2:3], v[2:3], v[84:85]
	v_mul_f64 v[84:85], v[4:5], s[38:39]
	v_mul_f64 v[86:87], v[12:13], s[30:31]
	v_add_f64 v[0:1], v[0:1], v[94:95]
	v_add_f64 v[2:3], v[2:3], v[92:93]
	v_mul_f64 v[92:93], v[30:31], s[40:41]
	v_mul_f64 v[94:95], v[36:37], s[40:41]
	v_add_f64 v[0:1], v[0:1], v[106:107]
	v_add_f64 v[2:3], v[2:3], v[104:105]
	;; [unrolled: 1-line block ×3, first 2 shown]
	v_fma_f64 v[68:69], v[10:11], s[28:29], v[14:15]
	v_fma_f64 v[14:15], v[10:11], s[28:29], -v[14:15]
	v_add_f64 v[104:105], v[104:105], v[108:109]
	v_add_f64 v[0:1], v[0:1], v[110:111]
	;; [unrolled: 1-line block ×3, first 2 shown]
	v_mul_f64 v[108:109], v[22:23], s[12:13]
	v_add_f64 v[68:69], v[170:171], v[68:69]
	v_add_f64 v[14:15], v[170:171], v[14:15]
	v_mul_f64 v[110:111], v[28:29], s[12:13]
	v_fma_f64 v[196:197], v[106:107], s[24:25], v[194:195]
	v_add_f64 v[0:1], v[0:1], v[102:103]
	v_add_f64 v[2:3], v[2:3], v[100:101]
	v_add_f64 v[100:101], v[78:79], -v[90:91]
	v_add_f64 v[102:103], v[70:71], v[82:83]
	v_add_f64 v[0:1], v[0:1], v[98:99]
	;; [unrolled: 1-line block ×5, first 2 shown]
	v_mul_f64 v[76:77], v[8:9], s[12:13]
	v_mul_f64 v[78:79], v[12:13], s[12:13]
	;; [unrolled: 1-line block ×4, first 2 shown]
	v_add_f64 v[0:1], v[0:1], v[90:91]
	v_add_f64 v[2:3], v[2:3], v[88:89]
	v_mul_f64 v[88:89], v[38:39], s[20:21]
	v_mul_f64 v[90:91], v[100:101], s[20:21]
	v_add_f64 v[0:1], v[0:1], v[82:83]
	v_add_f64 v[70:71], v[2:3], v[80:81]
	v_fma_f64 v[80:81], v[16:17], s[28:29], -v[18:19]
	v_fma_f64 v[18:19], v[16:17], s[28:29], v[18:19]
	v_add_f64 v[2:3], v[0:1], v[74:75]
	v_add_f64 v[0:1], v[70:71], v[72:73]
	v_fma_f64 v[70:71], v[102:103], s[0:1], v[76:77]
	v_fma_f64 v[72:73], v[106:107], s[0:1], -v[78:79]
	v_add_f64 v[74:75], v[168:169], v[80:81]
	v_mul_f64 v[80:81], v[38:39], s[38:39]
	v_fma_f64 v[76:77], v[102:103], s[0:1], -v[76:77]
	v_fma_f64 v[78:79], v[106:107], s[0:1], v[78:79]
	v_add_f64 v[18:19], v[168:169], v[18:19]
	v_add_f64 v[68:69], v[70:71], v[68:69]
	v_mul_f64 v[70:71], v[100:101], s[38:39]
	v_add_f64 v[72:73], v[72:73], v[74:75]
	v_fma_f64 v[74:75], v[96:97], s[26:27], v[80:81]
	v_add_f64 v[14:15], v[76:77], v[14:15]
	v_mul_f64 v[76:77], v[30:31], s[4:5]
	v_add_f64 v[18:19], v[78:79], v[18:19]
	v_fma_f64 v[80:81], v[96:97], s[26:27], -v[80:81]
	v_fma_f64 v[78:79], v[98:99], s[26:27], -v[70:71]
	v_fma_f64 v[70:71], v[98:99], s[26:27], v[70:71]
	v_add_f64 v[68:69], v[74:75], v[68:69]
	v_mul_f64 v[74:75], v[36:37], s[4:5]
	v_add_f64 v[14:15], v[80:81], v[14:15]
	v_add_f64 v[72:73], v[78:79], v[72:73]
	v_fma_f64 v[78:79], v[32:33], s[2:3], v[76:77]
	v_add_f64 v[18:19], v[70:71], v[18:19]
	v_fma_f64 v[80:81], v[34:35], s[2:3], -v[74:75]
	v_mul_f64 v[70:71], v[22:23], s[34:35]
	v_fma_f64 v[76:77], v[32:33], s[2:3], -v[76:77]
	v_fma_f64 v[74:75], v[34:35], s[2:3], v[74:75]
	v_add_f64 v[68:69], v[78:79], v[68:69]
	v_mul_f64 v[78:79], v[28:29], s[34:35]
	v_add_f64 v[72:73], v[80:81], v[72:73]
	v_fma_f64 v[80:81], v[24:25], s[24:25], v[70:71]
	v_add_f64 v[14:15], v[76:77], v[14:15]
	v_mul_f64 v[76:77], v[178:179], s[30:31]
	v_add_f64 v[18:19], v[74:75], v[18:19]
	v_fma_f64 v[70:71], v[24:25], s[24:25], -v[70:71]
	v_fma_f64 v[74:75], v[26:27], s[24:25], -v[78:79]
	v_fma_f64 v[78:79], v[26:27], s[24:25], v[78:79]
	v_add_f64 v[68:69], v[80:81], v[68:69]
	v_mul_f64 v[80:81], v[20:21], s[30:31]
	v_add_f64 v[14:15], v[70:71], v[14:15]
	v_add_f64 v[72:73], v[74:75], v[72:73]
	v_fma_f64 v[74:75], v[176:177], s[16:17], v[76:77]
	v_add_f64 v[18:19], v[78:79], v[18:19]
	v_fma_f64 v[82:83], v[104:105], s[16:17], -v[80:81]
	v_fma_f64 v[76:77], v[176:177], s[16:17], -v[76:77]
	v_fma_f64 v[78:79], v[104:105], s[16:17], v[80:81]
	v_mul_f64 v[80:81], v[8:9], s[30:31]
	v_add_f64 v[70:71], v[74:75], v[68:69]
	v_add_f64 v[68:69], v[82:83], v[72:73]
	v_fma_f64 v[82:83], v[10:11], s[26:27], v[84:85]
	v_add_f64 v[74:75], v[76:77], v[14:15]
	v_add_f64 v[72:73], v[78:79], v[18:19]
	v_fma_f64 v[14:15], v[102:103], s[16:17], v[80:81]
	v_fma_f64 v[76:77], v[106:107], s[16:17], -v[86:87]
	v_fma_f64 v[80:81], v[102:103], s[16:17], -v[80:81]
	v_add_f64 v[18:19], v[170:171], v[82:83]
	v_mul_f64 v[82:83], v[6:7], s[38:39]
	v_add_f64 v[14:15], v[14:15], v[18:19]
	v_fma_f64 v[18:19], v[16:17], s[26:27], -v[82:83]
	v_add_f64 v[18:19], v[168:169], v[18:19]
	v_add_f64 v[18:19], v[76:77], v[18:19]
	v_fma_f64 v[76:77], v[96:97], s[2:3], v[88:89]
	v_add_f64 v[14:15], v[76:77], v[14:15]
	v_fma_f64 v[76:77], v[98:99], s[2:3], -v[90:91]
	v_add_f64 v[18:19], v[76:77], v[18:19]
	v_fma_f64 v[76:77], v[32:33], s[28:29], v[92:93]
	v_add_f64 v[14:15], v[76:77], v[14:15]
	v_fma_f64 v[76:77], v[34:35], s[28:29], -v[94:95]
	;; [unrolled: 4-line block ×3, first 2 shown]
	v_add_f64 v[18:19], v[76:77], v[18:19]
	v_fma_f64 v[76:77], v[176:177], s[24:25], v[172:173]
	v_add_f64 v[78:79], v[76:77], v[14:15]
	v_mul_f64 v[14:15], v[20:21], s[34:35]
	v_fma_f64 v[76:77], v[104:105], s[24:25], -v[14:15]
	v_fma_f64 v[14:15], v[104:105], s[24:25], v[14:15]
	v_add_f64 v[76:77], v[76:77], v[18:19]
	v_fma_f64 v[18:19], v[10:11], s[26:27], -v[84:85]
	v_add_f64 v[18:19], v[170:171], v[18:19]
	v_add_f64 v[18:19], v[80:81], v[18:19]
	v_fma_f64 v[80:81], v[16:17], s[26:27], v[82:83]
	v_fma_f64 v[82:83], v[106:107], s[16:17], v[86:87]
	v_add_f64 v[80:81], v[168:169], v[80:81]
	v_add_f64 v[80:81], v[82:83], v[80:81]
	v_fma_f64 v[82:83], v[96:97], s[2:3], -v[88:89]
	v_add_f64 v[18:19], v[82:83], v[18:19]
	v_fma_f64 v[82:83], v[98:99], s[2:3], v[90:91]
	v_fma_f64 v[90:91], v[102:103], s[24:25], -v[190:191]
	v_add_f64 v[80:81], v[82:83], v[80:81]
	v_fma_f64 v[82:83], v[32:33], s[28:29], -v[92:93]
	v_mul_f64 v[92:93], v[6:7], s[22:23]
	v_add_f64 v[18:19], v[82:83], v[18:19]
	v_fma_f64 v[82:83], v[34:35], s[28:29], v[94:95]
	v_mul_f64 v[94:95], v[4:5], s[20:21]
	v_add_f64 v[80:81], v[82:83], v[80:81]
	v_fma_f64 v[82:83], v[24:25], s[0:1], -v[108:109]
	v_mul_f64 v[108:109], v[8:9], s[42:43]
	v_add_f64 v[18:19], v[82:83], v[18:19]
	v_fma_f64 v[82:83], v[26:27], s[0:1], v[110:111]
	v_fma_f64 v[84:85], v[102:103], s[28:29], -v[108:109]
	v_mul_f64 v[110:111], v[12:13], s[42:43]
	v_mul_f64 v[12:13], v[12:13], s[36:37]
	v_add_f64 v[80:81], v[82:83], v[80:81]
	v_fma_f64 v[82:83], v[176:177], s[24:25], -v[172:173]
	v_fma_f64 v[86:87], v[106:107], s[28:29], v[110:111]
	v_mul_f64 v[172:173], v[38:39], s[44:45]
	v_add_f64 v[80:81], v[14:15], v[80:81]
	v_mul_f64 v[14:15], v[4:5], s[22:23]
	v_add_f64 v[82:83], v[82:83], v[18:19]
	v_fma_f64 v[18:19], v[10:11], s[16:17], -v[14:15]
	v_fma_f64 v[14:15], v[10:11], s[16:17], v[14:15]
	v_add_f64 v[18:19], v[170:171], v[18:19]
	v_add_f64 v[14:15], v[170:171], v[14:15]
	;; [unrolled: 1-line block ×3, first 2 shown]
	v_fma_f64 v[84:85], v[16:17], s[16:17], v[92:93]
	v_fma_f64 v[92:93], v[16:17], s[16:17], -v[92:93]
	v_add_f64 v[84:85], v[168:169], v[84:85]
	v_add_f64 v[84:85], v[86:87], v[84:85]
	v_fma_f64 v[86:87], v[96:97], s[24:25], -v[172:173]
	v_add_f64 v[18:19], v[86:87], v[18:19]
	v_fma_f64 v[86:87], v[98:99], s[24:25], v[174:175]
	v_add_f64 v[84:85], v[86:87], v[84:85]
	v_fma_f64 v[86:87], v[32:33], s[0:1], -v[180:181]
	v_add_f64 v[18:19], v[86:87], v[18:19]
	v_fma_f64 v[86:87], v[34:35], s[0:1], v[182:183]
	;; [unrolled: 4-line block ×3, first 2 shown]
	v_add_f64 v[84:85], v[86:87], v[84:85]
	v_fma_f64 v[86:87], v[176:177], s[26:27], -v[188:189]
	v_add_f64 v[86:87], v[86:87], v[18:19]
	v_mul_f64 v[18:19], v[20:21], s[38:39]
	v_fma_f64 v[88:89], v[104:105], s[26:27], v[18:19]
	v_fma_f64 v[18:19], v[104:105], s[26:27], -v[18:19]
	v_add_f64 v[84:85], v[88:89], v[84:85]
	v_fma_f64 v[88:89], v[10:11], s[2:3], -v[94:95]
	v_fma_f64 v[94:95], v[10:11], s[2:3], v[94:95]
	v_add_f64 v[88:89], v[170:171], v[88:89]
	v_add_f64 v[222:223], v[170:171], v[94:95]
	;; [unrolled: 1-line block ×3, first 2 shown]
	v_fma_f64 v[90:91], v[16:17], s[2:3], v[192:193]
	v_fma_f64 v[192:193], v[16:17], s[2:3], -v[192:193]
	v_add_f64 v[90:91], v[168:169], v[90:91]
	v_add_f64 v[192:193], v[168:169], v[192:193]
	;; [unrolled: 1-line block ×3, first 2 shown]
	v_mul_f64 v[196:197], v[38:39], s[42:43]
	v_fma_f64 v[198:199], v[96:97], s[28:29], -v[196:197]
	v_add_f64 v[88:89], v[198:199], v[88:89]
	v_mul_f64 v[198:199], v[100:101], s[42:43]
	v_mul_f64 v[100:101], v[100:101], s[12:13]
	v_fma_f64 v[200:201], v[98:99], s[28:29], v[198:199]
	v_add_f64 v[90:91], v[200:201], v[90:91]
	v_mul_f64 v[200:201], v[30:31], s[36:37]
	v_mul_f64 v[30:31], v[30:31], s[22:23]
	v_fma_f64 v[202:203], v[32:33], s[26:27], -v[200:201]
	v_add_f64 v[88:89], v[202:203], v[88:89]
	v_mul_f64 v[202:203], v[36:37], s[36:37]
	v_mul_f64 v[36:37], v[36:37], s[22:23]
	v_fma_f64 v[204:205], v[34:35], s[26:27], v[202:203]
	v_add_f64 v[90:91], v[204:205], v[90:91]
	v_mul_f64 v[204:205], v[22:23], s[30:31]
	v_mul_f64 v[22:23], v[22:23], s[40:41]
	v_fma_f64 v[206:207], v[24:25], s[16:17], -v[204:205]
	v_add_f64 v[88:89], v[206:207], v[88:89]
	v_mul_f64 v[206:207], v[28:29], s[30:31]
	v_mul_f64 v[28:29], v[28:29], s[40:41]
	v_fma_f64 v[208:209], v[26:27], s[16:17], v[206:207]
	v_add_f64 v[208:209], v[208:209], v[90:91]
	v_fma_f64 v[90:91], v[176:177], s[0:1], -v[210:211]
	v_add_f64 v[90:91], v[90:91], v[88:89]
	v_fma_f64 v[88:89], v[104:105], s[0:1], v[212:213]
	v_add_f64 v[88:89], v[88:89], v[208:209]
	v_mul_f64 v[208:209], v[4:5], s[34:35]
	v_mul_f64 v[4:5], v[4:5], s[18:19]
	v_fma_f64 v[214:215], v[10:11], s[24:25], v[208:209]
	v_fma_f64 v[208:209], v[10:11], s[24:25], -v[208:209]
	v_fma_f64 v[216:217], v[10:11], s[0:1], v[4:5]
	v_fma_f64 v[4:5], v[10:11], s[0:1], -v[4:5]
	v_mul_f64 v[10:11], v[6:7], s[34:35]
	v_mul_f64 v[6:7], v[6:7], s[18:19]
	v_add_f64 v[208:209], v[170:171], v[208:209]
	v_add_f64 v[216:217], v[170:171], v[216:217]
	;; [unrolled: 1-line block ×3, first 2 shown]
	v_fma_f64 v[218:219], v[16:17], s[24:25], -v[10:11]
	v_fma_f64 v[10:11], v[16:17], s[24:25], v[10:11]
	v_fma_f64 v[220:221], v[16:17], s[0:1], -v[6:7]
	v_fma_f64 v[6:7], v[16:17], s[0:1], v[6:7]
	v_add_f64 v[16:17], v[170:171], v[214:215]
	v_mul_f64 v[170:171], v[38:39], s[22:23]
	v_mul_f64 v[38:39], v[38:39], s[12:13]
	v_add_f64 v[214:215], v[168:169], v[218:219]
	v_add_f64 v[10:11], v[168:169], v[10:11]
	;; [unrolled: 1-line block ×5, first 2 shown]
	v_mul_f64 v[168:169], v[8:9], s[20:21]
	v_fma_f64 v[92:93], v[102:103], s[2:3], -v[168:169]
	v_add_f64 v[4:5], v[92:93], v[4:5]
	v_fma_f64 v[92:93], v[96:97], s[16:17], -v[170:171]
	v_add_f64 v[4:5], v[92:93], v[4:5]
	;; [unrolled: 2-line block ×4, first 2 shown]
	v_fma_f64 v[92:93], v[106:107], s[2:3], v[228:229]
	v_add_f64 v[6:7], v[92:93], v[6:7]
	v_fma_f64 v[92:93], v[98:99], s[16:17], v[230:231]
	v_add_f64 v[6:7], v[92:93], v[6:7]
	;; [unrolled: 2-line block ×4, first 2 shown]
	v_fma_f64 v[92:93], v[176:177], s[28:29], -v[241:242]
	v_add_f64 v[94:95], v[92:93], v[4:5]
	v_mul_f64 v[4:5], v[20:21], s[42:43]
	v_mul_f64 v[20:21], v[20:21], s[4:5]
	v_fma_f64 v[92:93], v[104:105], s[28:29], v[4:5]
	v_fma_f64 v[4:5], v[104:105], s[28:29], -v[4:5]
	v_add_f64 v[92:93], v[92:93], v[6:7]
	v_mul_f64 v[6:7], v[8:9], s[36:37]
	v_fma_f64 v[8:9], v[102:103], s[26:27], v[6:7]
	v_fma_f64 v[6:7], v[102:103], s[26:27], -v[6:7]
	v_add_f64 v[8:9], v[8:9], v[16:17]
	v_fma_f64 v[16:17], v[106:107], s[26:27], -v[12:13]
	v_fma_f64 v[12:13], v[106:107], s[26:27], v[12:13]
	v_add_f64 v[6:7], v[6:7], v[208:209]
	v_add_f64 v[16:17], v[16:17], v[214:215]
	;; [unrolled: 1-line block ×3, first 2 shown]
	v_fma_f64 v[12:13], v[96:97], s[0:1], -v[38:39]
	v_fma_f64 v[214:215], v[96:97], s[0:1], v[38:39]
	v_fma_f64 v[38:39], v[106:107], s[2:3], -v[228:229]
	v_add_f64 v[6:7], v[12:13], v[6:7]
	v_fma_f64 v[12:13], v[98:99], s[0:1], v[100:101]
	v_add_f64 v[8:9], v[214:215], v[8:9]
	v_fma_f64 v[214:215], v[98:99], s[0:1], -v[100:101]
	v_fma_f64 v[100:101], v[32:33], s[26:27], v[200:201]
	v_add_f64 v[38:39], v[38:39], v[220:221]
	v_add_f64 v[10:11], v[12:13], v[10:11]
	v_fma_f64 v[12:13], v[32:33], s[16:17], -v[30:31]
	v_add_f64 v[16:17], v[214:215], v[16:17]
	v_fma_f64 v[214:215], v[32:33], s[16:17], v[30:31]
	v_fma_f64 v[30:31], v[106:107], s[24:25], -v[194:195]
	v_add_f64 v[6:7], v[12:13], v[6:7]
	v_fma_f64 v[12:13], v[34:35], s[16:17], v[36:37]
	v_add_f64 v[8:9], v[214:215], v[8:9]
	v_fma_f64 v[214:215], v[34:35], s[16:17], -v[36:37]
	v_add_f64 v[30:31], v[30:31], v[192:193]
	v_fma_f64 v[36:37], v[96:97], s[16:17], v[170:171]
	v_fma_f64 v[170:171], v[104:105], s[0:1], -v[212:213]
	v_add_f64 v[10:11], v[12:13], v[10:11]
	v_fma_f64 v[12:13], v[24:25], s[28:29], -v[22:23]
	v_add_f64 v[16:17], v[214:215], v[16:17]
	v_fma_f64 v[214:215], v[24:25], s[28:29], v[22:23]
	v_fma_f64 v[22:23], v[98:99], s[24:25], -v[174:175]
	v_add_f64 v[6:7], v[12:13], v[6:7]
	v_fma_f64 v[12:13], v[26:27], s[28:29], v[28:29]
	v_add_f64 v[8:9], v[214:215], v[8:9]
	v_fma_f64 v[214:215], v[26:27], s[28:29], -v[28:29]
	v_fma_f64 v[28:29], v[96:97], s[28:29], v[196:197]
	v_add_f64 v[10:11], v[12:13], v[10:11]
	v_fma_f64 v[12:13], v[102:103], s[28:29], v[108:109]
	v_add_f64 v[16:17], v[214:215], v[16:17]
	v_fma_f64 v[108:109], v[176:177], s[0:1], v[210:211]
	v_add_f64 v[12:13], v[12:13], v[14:15]
	v_fma_f64 v[14:15], v[96:97], s[24:25], v[172:173]
	v_fma_f64 v[96:97], v[98:99], s[28:29], -v[198:199]
	v_add_f64 v[12:13], v[14:15], v[12:13]
	v_fma_f64 v[14:15], v[106:107], s[28:29], -v[110:111]
	v_add_f64 v[30:31], v[96:97], v[30:31]
	v_fma_f64 v[96:97], v[98:99], s[16:17], -v[230:231]
	v_fma_f64 v[98:99], v[32:33], s[0:1], v[180:181]
	v_fma_f64 v[32:33], v[32:33], s[24:25], v[224:225]
	v_add_f64 v[14:15], v[14:15], v[218:219]
	v_add_f64 v[38:39], v[96:97], v[38:39]
	;; [unrolled: 1-line block ×3, first 2 shown]
	v_fma_f64 v[96:97], v[24:25], s[16:17], v[204:205]
	v_fma_f64 v[98:99], v[26:27], s[16:17], -v[206:207]
	v_add_f64 v[14:15], v[22:23], v[14:15]
	v_fma_f64 v[22:23], v[102:103], s[24:25], v[190:191]
	v_add_f64 v[22:23], v[22:23], v[222:223]
	v_add_f64 v[22:23], v[28:29], v[22:23]
	v_fma_f64 v[28:29], v[102:103], s[2:3], v[168:169]
	v_fma_f64 v[102:103], v[34:35], s[26:27], -v[202:203]
	v_fma_f64 v[168:169], v[176:177], s[28:29], v[241:242]
	v_add_f64 v[22:23], v[100:101], v[22:23]
	v_add_f64 v[28:29], v[28:29], v[216:217]
	;; [unrolled: 1-line block ×5, first 2 shown]
	v_fma_f64 v[36:37], v[34:35], s[0:1], -v[182:183]
	v_fma_f64 v[34:35], v[34:35], s[24:25], -v[237:238]
	v_add_f64 v[30:31], v[98:99], v[30:31]
	v_add_f64 v[110:111], v[108:109], v[22:23]
	;; [unrolled: 1-line block ×4, first 2 shown]
	v_fma_f64 v[32:33], v[26:27], s[2:3], -v[186:187]
	v_fma_f64 v[36:37], v[24:25], s[2:3], v[184:185]
	v_fma_f64 v[24:25], v[24:25], s[26:27], v[226:227]
	v_fma_f64 v[26:27], v[26:27], s[26:27], -v[239:240]
	v_add_f64 v[34:35], v[34:35], v[38:39]
	v_fma_f64 v[38:39], v[176:177], s[26:27], v[188:189]
	v_add_f64 v[108:109], v[170:171], v[30:31]
	v_add_f64 v[14:15], v[32:33], v[14:15]
	v_mul_f64 v[32:33], v[178:179], s[4:5]
	v_add_f64 v[12:13], v[36:37], v[12:13]
	v_add_f64 v[24:25], v[24:25], v[28:29]
	v_fma_f64 v[28:29], v[104:105], s[2:3], v[20:21]
	v_fma_f64 v[20:21], v[104:105], s[2:3], -v[20:21]
	v_add_f64 v[26:27], v[26:27], v[34:35]
	v_add_f64 v[104:105], v[18:19], v[14:15]
	v_fma_f64 v[36:37], v[176:177], s[2:3], v[32:33]
	v_fma_f64 v[32:33], v[176:177], s[2:3], -v[32:33]
	v_add_f64 v[106:107], v[38:39], v[12:13]
	v_add_f64 v[96:97], v[28:29], v[10:11]
	;; [unrolled: 1-line block ×5, first 2 shown]
	v_lshl_add_u32 v4, v254, 4, v253
	v_add_f64 v[102:103], v[36:37], v[8:9]
	v_add_f64 v[98:99], v[32:33], v[6:7]
	ds_write_b128 v4, v[0:3]
	ds_write_b128 v4, v[92:95] offset:16
	ds_write_b128 v4, v[88:91] offset:32
	;; [unrolled: 1-line block ×12, first 2 shown]
.LBB0_13:
	s_or_b32 exec_lo, exec_lo, s33
	s_waitcnt lgkmcnt(0)
	s_barrier
	buffer_gl0_inv
	ds_read_b128 v[0:3], v249 offset:1248
	ds_read_b128 v[68:71], v249 offset:1872
	;; [unrolled: 1-line block ×4, first 2 shown]
	ds_read_b128 v[80:83], v249
	ds_read_b128 v[84:87], v249 offset:208
	ds_read_b128 v[88:91], v249 offset:1456
	;; [unrolled: 1-line block ×10, first 2 shown]
	s_mov_b32 s4, 0x134454ff
	s_mov_b32 s5, 0xbfee6f0e
	;; [unrolled: 1-line block ×8, first 2 shown]
	s_waitcnt lgkmcnt(14)
	v_mul_f64 v[4:5], v[62:63], v[2:3]
	s_waitcnt lgkmcnt(13)
	v_mul_f64 v[6:7], v[58:59], v[70:71]
	;; [unrolled: 2-line block ×4, first 2 shown]
	v_mul_f64 v[12:13], v[62:63], v[0:1]
	v_mul_f64 v[14:15], v[58:59], v[68:69]
	;; [unrolled: 1-line block ×4, first 2 shown]
	s_waitcnt lgkmcnt(8)
	v_mul_f64 v[22:23], v[62:63], v[88:89]
	s_waitcnt lgkmcnt(2)
	v_mul_f64 v[24:25], v[58:59], v[170:171]
	v_mul_f64 v[20:21], v[66:67], v[106:107]
	;; [unrolled: 1-line block ×5, first 2 shown]
	s_waitcnt lgkmcnt(1)
	v_mul_f64 v[54:55], v[142:143], v[174:175]
	v_mul_f64 v[58:59], v[142:143], v[172:173]
	;; [unrolled: 1-line block ×6, first 2 shown]
	s_mov_b32 s0, 0x372fe950
	s_mov_b32 s1, 0x3fd3c6ef
	v_fma_f64 v[0:1], v[60:61], v[0:1], v[4:5]
	v_fma_f64 v[4:5], v[56:57], v[68:69], v[6:7]
	;; [unrolled: 1-line block ×4, first 2 shown]
	v_fma_f64 v[2:3], v[60:61], v[2:3], -v[12:13]
	v_fma_f64 v[10:11], v[56:57], v[70:71], -v[14:15]
	v_mul_f64 v[14:15], v[62:63], v[90:91]
	v_mul_f64 v[12:13], v[66:67], v[104:105]
	v_fma_f64 v[16:17], v[64:65], v[74:75], -v[16:17]
	v_fma_f64 v[18:19], v[52:53], v[78:79], -v[18:19]
	v_fma_f64 v[24:25], v[56:57], v[168:169], v[24:25]
	s_waitcnt lgkmcnt(0)
	v_mul_f64 v[62:63], v[130:131], v[178:179]
	v_mul_f64 v[68:69], v[130:131], v[176:177]
	v_fma_f64 v[20:21], v[64:65], v[104:105], v[20:21]
	v_fma_f64 v[22:23], v[60:61], v[90:91], -v[22:23]
	v_fma_f64 v[26:27], v[56:57], v[170:171], -v[26:27]
	v_fma_f64 v[28:29], v[52:53], v[92:93], v[28:29]
	v_fma_f64 v[30:31], v[52:53], v[94:95], -v[30:31]
	v_fma_f64 v[74:75], v[140:141], v[172:173], v[54:55]
	v_fma_f64 v[76:77], v[140:141], v[174:175], -v[58:59]
	v_fma_f64 v[36:37], v[132:133], v[100:101], v[36:37]
	v_fma_f64 v[32:33], v[136:137], v[108:109], v[32:33]
	v_fma_f64 v[38:39], v[132:133], v[102:103], -v[38:39]
	v_add_f64 v[66:67], v[0:1], v[4:5]
	v_add_f64 v[52:53], v[80:81], v[6:7]
	v_add_f64 v[70:71], v[6:7], v[8:9]
	v_add_f64 v[92:93], v[0:1], -v[4:5]
	v_add_f64 v[72:73], v[2:3], v[10:11]
	v_fma_f64 v[14:15], v[60:61], v[88:89], v[14:15]
	v_fma_f64 v[12:13], v[64:65], v[106:107], -v[12:13]
	v_add_f64 v[56:57], v[82:83], v[16:17]
	v_add_f64 v[54:55], v[16:17], -v[18:19]
	v_add_f64 v[58:59], v[16:17], v[18:19]
	v_add_f64 v[64:65], v[2:3], -v[10:11]
	v_fma_f64 v[88:89], v[128:129], v[176:177], v[62:63]
	v_fma_f64 v[90:91], v[128:129], v[178:179], -v[68:69]
	v_add_f64 v[62:63], v[6:7], -v[0:1]
	v_add_f64 v[68:69], v[8:9], -v[4:5]
	;; [unrolled: 1-line block ×5, first 2 shown]
	v_add_f64 v[102:103], v[20:21], v[28:29]
	v_add_f64 v[106:107], v[84:85], v[20:21]
	v_fma_f64 v[34:35], v[136:137], v[110:111], -v[34:35]
	v_add_f64 v[104:105], v[10:11], -v[18:19]
	v_fma_f64 v[60:61], v[66:67], -0.5, v[80:81]
	v_add_f64 v[138:139], v[22:23], v[26:27]
	v_fma_f64 v[66:67], v[70:71], -0.5, v[80:81]
	v_add_f64 v[70:71], v[6:7], -v[8:9]
	v_fma_f64 v[72:73], v[72:73], -0.5, v[82:83]
	v_add_f64 v[78:79], v[14:15], v[24:25]
	v_add_f64 v[6:7], v[0:1], -v[6:7]
	v_add_f64 v[0:1], v[52:53], v[0:1]
	v_add_f64 v[2:3], v[56:57], v[2:3]
	v_fma_f64 v[52:53], v[58:59], -0.5, v[82:83]
	v_add_f64 v[80:81], v[4:5], -v[8:9]
	v_add_f64 v[108:109], v[12:13], -v[30:31]
	;; [unrolled: 1-line block ×3, first 2 shown]
	v_add_f64 v[136:137], v[86:87], v[12:13]
	v_add_f64 v[62:63], v[62:63], v[68:69]
	v_add_f64 v[128:129], v[20:21], -v[14:15]
	v_add_f64 v[132:133], v[14:15], -v[20:21]
	;; [unrolled: 1-line block ×3, first 2 shown]
	v_fma_f64 v[68:69], v[102:103], -0.5, v[84:85]
	v_add_f64 v[102:103], v[32:33], v[88:89]
	v_add_f64 v[140:141], v[34:35], v[90:91]
	;; [unrolled: 1-line block ×3, first 2 shown]
	v_fma_f64 v[56:57], v[54:55], s[4:5], v[60:61]
	v_fma_f64 v[58:59], v[54:55], s[16:17], v[60:61]
	;; [unrolled: 1-line block ×6, first 2 shown]
	v_fma_f64 v[78:79], v[78:79], -0.5, v[84:85]
	v_add_f64 v[0:1], v[0:1], v[4:5]
	v_add_f64 v[2:3], v[2:3], v[10:11]
	v_fma_f64 v[4:5], v[92:93], s[4:5], v[52:53]
	v_add_f64 v[6:7], v[6:7], v[80:81]
	v_add_f64 v[80:81], v[94:95], v[100:101]
	v_add_f64 v[100:101], v[36:37], v[74:75]
	v_add_f64 v[84:85], v[106:107], v[14:15]
	v_add_f64 v[106:107], v[38:39], v[76:77]
	v_fma_f64 v[104:105], v[138:139], -0.5, v[86:87]
	v_add_f64 v[130:131], v[28:29], -v[24:25]
	v_add_f64 v[134:135], v[24:25], -v[28:29]
	v_fma_f64 v[142:143], v[110:111], s[16:17], v[68:69]
	v_fma_f64 v[68:69], v[110:111], s[4:5], v[68:69]
	s_barrier
	v_fma_f64 v[10:11], v[64:65], s[2:3], v[56:57]
	v_fma_f64 v[56:57], v[64:65], s[12:13], v[58:59]
	;; [unrolled: 1-line block ×7, first 2 shown]
	v_add_f64 v[92:93], v[12:13], v[30:31]
	v_fma_f64 v[94:95], v[108:109], s[4:5], v[78:79]
	v_fma_f64 v[78:79], v[108:109], s[16:17], v[78:79]
	;; [unrolled: 1-line block ×3, first 2 shown]
	v_add_f64 v[2:3], v[2:3], v[18:19]
	v_add_f64 v[0:1], v[0:1], v[8:9]
	;; [unrolled: 1-line block ×3, first 2 shown]
	buffer_gl0_inv
	v_add_f64 v[84:85], v[132:133], v[134:135]
	v_add_f64 v[132:133], v[32:33], -v[36:37]
	v_add_f64 v[134:135], v[88:89], -v[74:75]
	v_fma_f64 v[52:53], v[62:63], s[0:1], v[10:11]
	v_add_f64 v[10:11], v[14:15], -v[24:25]
	v_fma_f64 v[56:57], v[62:63], s[0:1], v[56:57]
	v_fma_f64 v[60:61], v[6:7], s[0:1], v[58:59]
	;; [unrolled: 1-line block ×5, first 2 shown]
	v_fma_f64 v[14:15], v[92:93], -0.5, v[86:87]
	v_add_f64 v[62:63], v[96:97], v[32:33]
	v_fma_f64 v[66:67], v[100:101], -0.5, v[96:97]
	v_add_f64 v[70:71], v[34:35], -v[90:91]
	v_add_f64 v[86:87], v[98:99], v[34:35]
	v_fma_f64 v[18:19], v[110:111], s[2:3], v[94:95]
	v_fma_f64 v[92:93], v[106:107], -0.5, v[98:99]
	v_add_f64 v[94:95], v[32:33], -v[88:89]
	v_fma_f64 v[58:59], v[80:81], s[0:1], v[72:73]
	v_add_f64 v[72:73], v[38:39], -v[76:77]
	v_fma_f64 v[82:83], v[102:103], -0.5, v[96:97]
	v_add_f64 v[100:101], v[36:37], -v[74:75]
	v_fma_f64 v[98:99], v[140:141], -0.5, v[98:99]
	v_add_f64 v[96:97], v[136:137], v[22:23]
	v_fma_f64 v[78:79], v[110:111], s[12:13], v[78:79]
	v_fma_f64 v[102:103], v[20:21], s[16:17], v[104:105]
	v_add_f64 v[106:107], v[12:13], -v[22:23]
	v_add_f64 v[110:111], v[30:31], -v[26:27]
	v_add_f64 v[24:25], v[128:129], v[130:131]
	v_fma_f64 v[104:105], v[20:21], s[4:5], v[104:105]
	v_add_f64 v[12:13], v[22:23], -v[12:13]
	v_add_f64 v[22:23], v[26:27], -v[30:31]
	v_fma_f64 v[128:129], v[10:11], s[4:5], v[14:15]
	v_fma_f64 v[14:15], v[10:11], s[16:17], v[14:15]
	v_add_f64 v[62:63], v[62:63], v[36:37]
	v_fma_f64 v[130:131], v[70:71], s[4:5], v[66:67]
	v_add_f64 v[86:87], v[86:87], v[38:39]
	v_fma_f64 v[80:81], v[108:109], s[2:3], v[142:143]
	v_add_f64 v[140:141], v[34:35], -v[38:39]
	v_fma_f64 v[138:139], v[94:95], s[16:17], v[92:93]
	v_add_f64 v[142:143], v[90:91], -v[76:77]
	v_add_f64 v[32:33], v[36:37], -v[32:33]
	v_fma_f64 v[136:137], v[72:73], s[16:17], v[82:83]
	v_add_f64 v[36:37], v[74:75], -v[88:89]
	v_fma_f64 v[168:169], v[100:101], s[4:5], v[98:99]
	v_add_f64 v[34:35], v[38:39], -v[34:35]
	v_add_f64 v[38:39], v[76:77], -v[90:91]
	v_fma_f64 v[66:67], v[70:71], s[16:17], v[66:67]
	v_fma_f64 v[82:83], v[72:73], s[4:5], v[82:83]
	;; [unrolled: 1-line block ×4, first 2 shown]
	v_add_f64 v[26:27], v[96:97], v[26:27]
	v_fma_f64 v[96:97], v[10:11], s[12:13], v[102:103]
	v_add_f64 v[102:103], v[106:107], v[110:111]
	v_fma_f64 v[10:11], v[10:11], s[2:3], v[104:105]
	v_fma_f64 v[104:105], v[20:21], s[12:13], v[128:129]
	v_add_f64 v[12:13], v[12:13], v[22:23]
	v_fma_f64 v[108:109], v[108:109], s[12:13], v[68:69]
	;; [unrolled: 3-line block ×3, first 2 shown]
	v_add_f64 v[130:131], v[86:87], v[76:77]
	v_add_f64 v[106:107], v[132:133], v[134:135]
	v_fma_f64 v[132:133], v[100:101], s[12:13], v[138:139]
	v_add_f64 v[134:135], v[140:141], v[142:143]
	v_fma_f64 v[128:129], v[70:71], s[2:3], v[136:137]
	v_add_f64 v[32:33], v[32:33], v[36:37]
	v_fma_f64 v[136:137], v[94:95], s[12:13], v[168:169]
	v_add_f64 v[34:35], v[34:35], v[38:39]
	v_fma_f64 v[110:111], v[72:73], s[12:13], v[66:67]
	v_fma_f64 v[36:37], v[70:71], s[12:13], v[82:83]
	v_fma_f64 v[38:39], v[94:95], s[2:3], v[98:99]
	;; [unrolled: 1-line block ×5, first 2 shown]
	v_add_f64 v[68:69], v[8:9], v[28:29]
	v_add_f64 v[70:71], v[26:27], v[30:31]
	v_fma_f64 v[72:73], v[24:25], s[0:1], v[18:19]
	v_fma_f64 v[74:75], v[102:103], s[0:1], v[96:97]
	;; [unrolled: 1-line block ×8, first 2 shown]
	v_add_f64 v[88:89], v[20:21], v[88:89]
	v_add_f64 v[90:91], v[130:131], v[90:91]
	v_fma_f64 v[92:93], v[106:107], s[0:1], v[22:23]
	v_fma_f64 v[94:95], v[134:135], s[0:1], v[132:133]
	;; [unrolled: 1-line block ×8, first 2 shown]
	ds_write_b128 v249, v[0:3]
	ds_write_b128 v249, v[52:55] offset:208
	ds_write_b128 v249, v[60:63] offset:416
	;; [unrolled: 1-line block ×14, first 2 shown]
	s_waitcnt lgkmcnt(0)
	s_barrier
	buffer_gl0_inv
	ds_read_b128 v[0:3], v249 offset:1040
	ds_read_b128 v[52:55], v249 offset:2080
	;; [unrolled: 1-line block ×10, first 2 shown]
	s_mov_b32 s0, 0xe8584caa
	s_mov_b32 s1, 0xbfebb67a
	;; [unrolled: 1-line block ×4, first 2 shown]
	s_mul_i32 s4, s8, 0xf0
	ds_read_b128 v[88:91], v249 offset:208
	s_waitcnt lgkmcnt(10)
	v_mul_f64 v[4:5], v[118:119], v[2:3]
	s_waitcnt lgkmcnt(9)
	v_mul_f64 v[6:7], v[122:123], v[54:55]
	v_mul_f64 v[8:9], v[118:119], v[0:1]
	;; [unrolled: 1-line block ×3, first 2 shown]
	s_waitcnt lgkmcnt(6)
	v_mul_f64 v[12:13], v[114:115], v[66:67]
	v_mul_f64 v[14:15], v[126:127], v[58:59]
	;; [unrolled: 1-line block ×4, first 2 shown]
	s_waitcnt lgkmcnt(5)
	v_mul_f64 v[20:21], v[150:151], v[70:71]
	v_mul_f64 v[22:23], v[150:151], v[68:69]
	s_waitcnt lgkmcnt(4)
	v_mul_f64 v[24:25], v[146:147], v[74:75]
	v_mul_f64 v[26:27], v[146:147], v[72:73]
	;; [unrolled: 3-line block ×3, first 2 shown]
	v_mul_f64 v[32:33], v[158:159], v[78:79]
	v_mul_f64 v[34:35], v[158:159], v[76:77]
	v_fma_f64 v[4:5], v[116:117], v[0:1], v[4:5]
	v_fma_f64 v[6:7], v[120:121], v[52:53], v[6:7]
	v_fma_f64 v[8:9], v[116:117], v[2:3], -v[8:9]
	ds_read_b128 v[0:3], v249 offset:2912
	v_fma_f64 v[10:11], v[120:121], v[54:55], -v[10:11]
	ds_read_b128 v[52:55], v249
	s_waitcnt lgkmcnt(3)
	v_mul_f64 v[38:39], v[166:167], v[86:87]
	v_mul_f64 v[96:97], v[166:167], v[84:85]
	v_fma_f64 v[12:13], v[112:113], v[64:65], v[12:13]
	v_fma_f64 v[14:15], v[124:125], v[56:57], v[14:15]
	v_fma_f64 v[16:17], v[112:113], v[66:67], -v[16:17]
	v_fma_f64 v[18:19], v[124:125], v[58:59], -v[18:19]
	v_fma_f64 v[20:21], v[148:149], v[68:69], v[20:21]
	v_fma_f64 v[22:23], v[148:149], v[70:71], -v[22:23]
	v_fma_f64 v[24:25], v[144:145], v[72:73], v[24:25]
	;; [unrolled: 2-line block ×4, first 2 shown]
	v_fma_f64 v[34:35], v[156:157], v[78:79], -v[34:35]
	v_add_f64 v[36:37], v[4:5], v[6:7]
	s_waitcnt lgkmcnt(1)
	v_mul_f64 v[94:95], v[154:155], v[2:3]
	v_mul_f64 v[64:65], v[154:155], v[0:1]
	v_add_f64 v[92:93], v[8:9], v[10:11]
	s_waitcnt lgkmcnt(0)
	v_add_f64 v[56:57], v[52:53], v[4:5]
	v_add_f64 v[58:59], v[8:9], -v[10:11]
	v_fma_f64 v[38:39], v[164:165], v[84:85], v[38:39]
	v_add_f64 v[8:9], v[54:55], v[8:9]
	v_add_f64 v[4:5], v[4:5], -v[6:7]
	v_fma_f64 v[74:75], v[164:165], v[86:87], -v[96:97]
	v_add_f64 v[76:77], v[12:13], v[14:15]
	v_add_f64 v[78:79], v[16:17], v[18:19]
	;; [unrolled: 1-line block ×3, first 2 shown]
	v_add_f64 v[12:13], v[12:13], -v[14:15]
	v_add_f64 v[80:81], v[22:23], v[26:27]
	v_add_f64 v[84:85], v[22:23], -v[26:27]
	v_add_f64 v[82:83], v[28:29], v[32:33]
	v_fma_f64 v[36:37], v[36:37], -0.5, v[52:53]
	v_fma_f64 v[98:99], v[152:153], v[0:1], v[94:95]
	v_fma_f64 v[102:103], v[152:153], v[2:3], -v[64:65]
	v_fma_f64 v[70:71], v[92:93], -0.5, v[54:55]
	v_add_f64 v[56:57], v[56:57], v[6:7]
	v_add_f64 v[6:7], v[20:21], v[24:25]
	ds_read_b128 v[0:3], v249 offset:416
	ds_read_b128 v[52:55], v249 offset:624
	v_add_f64 v[92:93], v[30:31], -v[34:35]
	v_add_f64 v[96:97], v[60:61], v[38:39]
	v_add_f64 v[106:107], v[62:63], v[74:75]
	v_fma_f64 v[78:79], v[78:79], -0.5, v[90:91]
	v_add_f64 v[72:73], v[72:73], v[14:15]
	v_fma_f64 v[64:65], v[58:59], s[0:1], v[36:37]
	v_fma_f64 v[68:69], v[58:59], s[2:3], v[36:37]
	v_add_f64 v[36:37], v[30:31], v[34:35]
	v_add_f64 v[58:59], v[8:9], v[10:11]
	v_fma_f64 v[66:67], v[4:5], s[2:3], v[70:71]
	v_add_f64 v[8:9], v[38:39], v[98:99]
	v_fma_f64 v[70:71], v[4:5], s[0:1], v[70:71]
	v_add_f64 v[4:5], v[74:75], v[102:103]
	v_fma_f64 v[10:11], v[76:77], -0.5, v[88:89]
	v_add_f64 v[76:77], v[16:17], -v[18:19]
	v_add_f64 v[16:17], v[90:91], v[16:17]
	s_waitcnt lgkmcnt(1)
	v_add_f64 v[14:15], v[0:1], v[20:21]
	v_add_f64 v[22:23], v[2:3], v[22:23]
	v_fma_f64 v[6:7], v[6:7], -0.5, v[0:1]
	v_fma_f64 v[86:87], v[80:81], -0.5, v[2:3]
	v_add_f64 v[20:21], v[20:21], -v[24:25]
	s_waitcnt lgkmcnt(0)
	v_add_f64 v[88:89], v[52:53], v[28:29]
	v_add_f64 v[30:31], v[54:55], v[30:31]
	v_fma_f64 v[90:91], v[82:83], -0.5, v[52:53]
	v_add_f64 v[28:29], v[28:29], -v[32:33]
	v_add_f64 v[104:105], v[74:75], -v[102:103]
	v_add_f64 v[38:39], v[38:39], -v[98:99]
	v_fma_f64 v[2:3], v[12:13], s[2:3], v[78:79]
	v_add_f64 v[96:97], v[96:97], v[98:99]
	v_fma_f64 v[36:37], v[36:37], -0.5, v[54:55]
	v_fma_f64 v[54:55], v[12:13], s[0:1], v[78:79]
	v_add_f64 v[98:99], v[106:107], v[102:103]
	v_fma_f64 v[8:9], v[8:9], -0.5, v[60:61]
	v_fma_f64 v[4:5], v[4:5], -0.5, v[62:63]
	v_fma_f64 v[0:1], v[76:77], s[0:1], v[10:11]
	v_add_f64 v[74:75], v[16:17], v[18:19]
	v_fma_f64 v[52:53], v[76:77], s[2:3], v[10:11]
	v_add_f64 v[60:61], v[14:15], v[24:25]
	v_add_f64 v[62:63], v[22:23], v[26:27]
	v_fma_f64 v[76:77], v[84:85], s[0:1], v[6:7]
	v_fma_f64 v[78:79], v[20:21], s[2:3], v[86:87]
	;; [unrolled: 1-line block ×4, first 2 shown]
	v_add_f64 v[84:85], v[88:89], v[32:33]
	v_add_f64 v[86:87], v[30:31], v[34:35]
	v_fma_f64 v[88:89], v[92:93], s[0:1], v[90:91]
	v_fma_f64 v[92:93], v[92:93], s[2:3], v[90:91]
	v_mad_u64_u32 v[14:15], null, s8, v236, 0
	v_fma_f64 v[90:91], v[28:29], s[2:3], v[36:37]
	v_fma_f64 v[94:95], v[28:29], s[0:1], v[36:37]
	;; [unrolled: 1-line block ×6, first 2 shown]
	ds_write_b128 v249, v[56:59]
	ds_write_b128 v252, v[64:67] offset:1040
	ds_write_b128 v252, v[68:71] offset:2080
	;; [unrolled: 1-line block ×14, first 2 shown]
	s_waitcnt lgkmcnt(0)
	s_barrier
	buffer_gl0_inv
	ds_read_b128 v[0:3], v249
	ds_read_b128 v[52:55], v249 offset:240
	s_clause 0x3
	buffer_load_dword v21, off, s[48:51], 0 offset:88
	buffer_load_dword v22, off, s[48:51], 0 offset:92
	;; [unrolled: 1-line block ×4, first 2 shown]
	ds_read_b128 v[56:59], v249 offset:480
	s_clause 0x1
	buffer_load_dword v8, off, s[48:51], 0 offset:48
	buffer_load_dword v9, off, s[48:51], 0 offset:52
	s_mov_b32 s2, 0x15015015
	s_mov_b32 s3, 0x3f750150
	s_mul_hi_u32 s1, s8, 0xf0
	s_waitcnt lgkmcnt(0)
	v_mul_f64 v[16:17], v[42:43], v[58:59]
	v_mul_f64 v[18:19], v[42:43], v[56:57]
	s_waitcnt vmcnt(2)
	v_mul_f64 v[4:5], v[23:24], v[2:3]
	v_mul_f64 v[6:7], v[23:24], v[0:1]
	s_clause 0x3
	buffer_load_dword v23, off, s[48:51], 0 offset:104
	buffer_load_dword v24, off, s[48:51], 0 offset:108
	;; [unrolled: 1-line block ×4, first 2 shown]
	s_waitcnt vmcnt(5)
	v_mov_b32_e32 v20, v8
	ds_read_b128 v[60:63], v249 offset:720
	s_waitcnt vmcnt(4)
	v_mad_u64_u32 v[8:9], null, s10, v20, 0
	v_fma_f64 v[4:5], v[21:22], v[0:1], v[4:5]
	v_mov_b32_e32 v0, v9
	v_mov_b32_e32 v9, v15
	v_fma_f64 v[6:7], v[21:22], v[2:3], -v[6:7]
	v_mad_u64_u32 v[20:21], null, s11, v20, v[0:1]
	ds_read_b128 v[0:3], v249 offset:960
	s_clause 0x3
	buffer_load_dword v32, off, s[48:51], 0 offset:152
	buffer_load_dword v33, off, s[48:51], 0 offset:156
	;; [unrolled: 1-line block ×4, first 2 shown]
	s_waitcnt vmcnt(4)
	v_mul_f64 v[10:11], v[25:26], v[54:55]
	v_mul_f64 v[12:13], v[25:26], v[52:53]
	v_mad_u64_u32 v[21:22], null, s9, v236, v[9:10]
	v_fma_f64 v[10:11], v[23:24], v[52:53], v[10:11]
	v_fma_f64 v[12:13], v[23:24], v[54:55], -v[12:13]
	v_mul_f64 v[22:23], v[4:5], s[2:3]
	v_fma_f64 v[4:5], v[40:41], v[56:57], v[16:17]
	v_fma_f64 v[16:17], v[40:41], v[58:59], -v[18:19]
	ds_read_b128 v[38:41], v249 offset:1200
	s_clause 0x3
	buffer_load_dword v28, off, s[48:51], 0 offset:136
	buffer_load_dword v29, off, s[48:51], 0 offset:140
	buffer_load_dword v30, off, s[48:51], 0 offset:144
	buffer_load_dword v31, off, s[48:51], 0 offset:148
	v_mov_b32_e32 v9, v20
	v_mov_b32_e32 v15, v21
	v_mul_f64 v[24:25], v[6:7], s[2:3]
	s_waitcnt vmcnt(4) lgkmcnt(2)
	v_mul_f64 v[18:19], v[34:35], v[62:63]
	v_mul_f64 v[26:27], v[34:35], v[60:61]
	v_lshlrev_b64 v[8:9], 4, v[8:9]
	v_lshlrev_b64 v[6:7], 4, v[14:15]
	ds_read_b128 v[34:37], v249 offset:1440
	v_add_co_u32 v20, s0, s14, v8
	v_add_co_ci_u32_e64 v21, s0, s15, v9, s0
	v_mul_f64 v[52:53], v[10:11], s[2:3]
	v_mul_f64 v[54:55], v[12:13], s[2:3]
	v_add_co_u32 v6, s0, v20, v6
	v_mul_f64 v[56:57], v[4:5], s[2:3]
	v_mul_f64 v[58:59], v[16:17], s[2:3]
	v_add_co_ci_u32_e64 v7, s0, v21, v7, s0
	s_mul_i32 s0, s9, 0xf0
	s_add_i32 s1, s1, s0
	v_add_co_u32 v12, s0, v6, s4
	v_add_co_ci_u32_e64 v13, s0, s1, v7, s0
	v_fma_f64 v[4:5], v[32:33], v[60:61], v[18:19]
	v_add_co_u32 v16, s0, v12, s4
	v_add_co_ci_u32_e64 v17, s0, s1, v13, s0
	v_fma_f64 v[10:11], v[32:33], v[62:63], -v[26:27]
	s_waitcnt vmcnt(0) lgkmcnt(2)
	v_mul_f64 v[14:15], v[30:31], v[2:3]
	v_mul_f64 v[8:9], v[30:31], v[0:1]
	v_fma_f64 v[14:15], v[28:29], v[0:1], v[14:15]
	v_fma_f64 v[8:9], v[28:29], v[2:3], -v[8:9]
	s_clause 0x3
	buffer_load_dword v28, off, s[48:51], 0
	buffer_load_dword v29, off, s[48:51], 0 offset:4
	buffer_load_dword v30, off, s[48:51], 0 offset:8
	;; [unrolled: 1-line block ×3, first 2 shown]
	global_store_dwordx4 v[6:7], v[22:25], off
	ds_read_b128 v[0:3], v249 offset:1680
	global_store_dwordx4 v[12:13], v[52:55], off
	global_store_dwordx4 v[16:17], v[56:59], off
	s_clause 0x3
	buffer_load_dword v76, off, s[48:51], 0 offset:16
	buffer_load_dword v77, off, s[48:51], 0 offset:20
	;; [unrolled: 1-line block ×4, first 2 shown]
	v_mul_f64 v[22:23], v[4:5], s[2:3]
	ds_read_b128 v[52:55], v249 offset:1920
	ds_read_b128 v[56:59], v249 offset:2160
	;; [unrolled: 1-line block ×5, first 2 shown]
	v_mul_f64 v[24:25], v[10:11], s[2:3]
	v_add_co_u32 v10, s0, v16, s4
	v_add_co_ci_u32_e64 v11, s0, s1, v17, s0
	v_mul_f64 v[68:69], v[14:15], s[2:3]
	v_mul_f64 v[70:71], v[8:9], s[2:3]
	s_waitcnt lgkmcnt(1)
	v_mul_f64 v[42:43], v[46:47], v[66:67]
	v_mul_f64 v[46:47], v[46:47], v[64:65]
	s_waitcnt vmcnt(4)
	v_mul_f64 v[18:19], v[30:31], v[40:41]
	v_mul_f64 v[26:27], v[30:31], v[38:39]
	s_waitcnt vmcnt(0)
	v_mul_f64 v[4:5], v[78:79], v[36:37]
	v_mul_f64 v[6:7], v[78:79], v[34:35]
	s_clause 0x3
	buffer_load_dword v78, off, s[48:51], 0 offset:32
	buffer_load_dword v79, off, s[48:51], 0 offset:36
	;; [unrolled: 1-line block ×4, first 2 shown]
	v_fma_f64 v[8:9], v[28:29], v[38:39], v[18:19]
	v_fma_f64 v[12:13], v[28:29], v[40:41], -v[26:27]
	v_add_co_u32 v18, s0, v10, s4
	v_fma_f64 v[30:31], v[76:77], v[34:35], v[4:5]
	v_fma_f64 v[32:33], v[76:77], v[36:37], -v[6:7]
	s_waitcnt lgkmcnt(0)
	v_mul_f64 v[76:77], v[50:51], v[74:75]
	v_mul_f64 v[50:51], v[50:51], v[72:73]
	v_add_co_ci_u32_e64 v19, s0, s1, v11, s0
	v_mul_f64 v[4:5], v[8:9], s[2:3]
	v_mul_f64 v[6:7], v[12:13], s[2:3]
	s_waitcnt vmcnt(0)
	v_mul_f64 v[14:15], v[80:81], v[2:3]
	v_mul_f64 v[16:17], v[80:81], v[0:1]
	s_clause 0x3
	buffer_load_dword v80, off, s[48:51], 0 offset:56
	buffer_load_dword v81, off, s[48:51], 0 offset:60
	;; [unrolled: 1-line block ×4, first 2 shown]
	v_fma_f64 v[8:9], v[78:79], v[0:1], v[14:15]
	v_mul_f64 v[0:1], v[30:31], s[2:3]
	v_fma_f64 v[30:31], v[48:49], v[72:73], v[76:77]
	v_mul_f64 v[8:9], v[8:9], s[2:3]
	v_mul_f64 v[30:31], v[30:31], s[2:3]
	s_waitcnt vmcnt(0)
	v_mul_f64 v[26:27], v[82:83], v[54:55]
	v_mul_f64 v[28:29], v[82:83], v[52:53]
	s_clause 0x3
	buffer_load_dword v82, off, s[48:51], 0 offset:72
	buffer_load_dword v83, off, s[48:51], 0 offset:76
	buffer_load_dword v84, off, s[48:51], 0 offset:80
	buffer_load_dword v85, off, s[48:51], 0 offset:84
	v_fma_f64 v[12:13], v[80:81], v[52:53], v[26:27]
	v_fma_f64 v[14:15], v[80:81], v[54:55], -v[28:29]
	v_fma_f64 v[26:27], v[44:45], v[64:65], v[42:43]
	v_fma_f64 v[28:29], v[44:45], v[66:67], -v[46:47]
	v_mul_f64 v[12:13], v[12:13], s[2:3]
	v_mul_f64 v[14:15], v[14:15], s[2:3]
	;; [unrolled: 1-line block ×4, first 2 shown]
	s_waitcnt vmcnt(0)
	v_mul_f64 v[34:35], v[84:85], v[58:59]
	v_mul_f64 v[36:37], v[84:85], v[56:57]
	s_clause 0x3
	buffer_load_dword v84, off, s[48:51], 0 offset:120
	buffer_load_dword v85, off, s[48:51], 0 offset:124
	buffer_load_dword v86, off, s[48:51], 0 offset:128
	buffer_load_dword v87, off, s[48:51], 0 offset:132
	global_store_dwordx4 v[10:11], v[22:25], off
	global_store_dwordx4 v[18:19], v[68:71], off
	v_add_co_u32 v68, s0, v18, s4
	v_fma_f64 v[10:11], v[78:79], v[2:3], -v[16:17]
	v_add_co_ci_u32_e64 v69, s0, s1, v19, s0
	v_mul_f64 v[2:3], v[32:33], s[2:3]
	v_fma_f64 v[32:33], v[48:49], v[74:75], -v[50:51]
	global_store_dwordx4 v[68:69], v[4:7], off
	v_fma_f64 v[16:17], v[82:83], v[56:57], v[34:35]
	v_fma_f64 v[18:19], v[82:83], v[58:59], -v[36:37]
	v_add_co_u32 v34, s0, v68, s4
	v_add_co_ci_u32_e64 v35, s0, s1, v69, s0
	v_mul_f64 v[10:11], v[10:11], s[2:3]
	v_add_co_u32 v36, s0, v34, s4
	v_add_co_ci_u32_e64 v37, s0, s1, v35, s0
	v_mul_f64 v[32:33], v[32:33], s[2:3]
	global_store_dwordx4 v[34:35], v[0:3], off
	v_mul_f64 v[16:17], v[16:17], s[2:3]
	v_mul_f64 v[18:19], v[18:19], s[2:3]
	global_store_dwordx4 v[36:37], v[8:11], off
	s_waitcnt vmcnt(0)
	v_mul_f64 v[38:39], v[86:87], v[62:63]
	v_mul_f64 v[40:41], v[86:87], v[60:61]
	v_fma_f64 v[22:23], v[84:85], v[60:61], v[38:39]
	v_fma_f64 v[24:25], v[84:85], v[62:63], -v[40:41]
	v_add_co_u32 v38, s0, v36, s4
	v_add_co_ci_u32_e64 v39, s0, s1, v37, s0
	v_add_co_u32 v40, s0, v38, s4
	v_add_co_ci_u32_e64 v41, s0, s1, v39, s0
	;; [unrolled: 2-line block ×4, first 2 shown]
	v_mul_f64 v[22:23], v[22:23], s[2:3]
	v_mul_f64 v[24:25], v[24:25], s[2:3]
	v_add_co_u32 v0, s0, v2, s4
	v_add_co_ci_u32_e64 v1, s0, s1, v3, s0
	global_store_dwordx4 v[38:39], v[12:15], off
	global_store_dwordx4 v[40:41], v[16:19], off
	;; [unrolled: 1-line block ×5, first 2 shown]
	s_and_b32 exec_lo, exec_lo, vcc_lo
	s_cbranch_execz .LBB0_15
; %bb.14:
	global_load_dwordx4 v[2:5], v[232:233], off offset:208
	ds_read_b128 v[6:9], v252 offset:208
	v_mad_u64_u32 v[12:13], null, 0xfffff590, s8, v[0:1]
	s_mul_i32 s0, s9, 0xfffff590
	s_mul_hi_u32 s4, s8, 0x1e0
	s_sub_i32 s0, s0, s8
	s_mul_i32 s1, s8, 0x1e0
	v_add_nc_u32_e32 v13, s0, v13
	s_mul_i32 s0, s9, 0x1e0
	s_add_i32 s0, s4, s0
	s_waitcnt vmcnt(0) lgkmcnt(0)
	v_mul_f64 v[10:11], v[8:9], v[4:5]
	v_mul_f64 v[4:5], v[6:7], v[4:5]
	v_fma_f64 v[6:7], v[6:7], v[2:3], v[10:11]
	v_fma_f64 v[4:5], v[2:3], v[8:9], -v[4:5]
	v_mul_f64 v[2:3], v[6:7], s[2:3]
	v_mul_f64 v[4:5], v[4:5], s[2:3]
	global_store_dwordx4 v[12:13], v[2:5], off
	global_load_dwordx4 v[0:3], v[232:233], off offset:448
	ds_read_b128 v[4:7], v249 offset:448
	ds_read_b128 v[8:11], v249 offset:688
	s_waitcnt vmcnt(0) lgkmcnt(1)
	v_mul_f64 v[14:15], v[6:7], v[2:3]
	v_mul_f64 v[2:3], v[4:5], v[2:3]
	v_fma_f64 v[4:5], v[4:5], v[0:1], v[14:15]
	v_fma_f64 v[2:3], v[0:1], v[6:7], -v[2:3]
	buffer_load_dword v1, off, s[48:51], 0 offset:188 ; 4-byte Folded Reload
	v_mul_f64 v[2:3], v[2:3], s[2:3]
	s_waitcnt vmcnt(0)
	v_mad_u64_u32 v[6:7], null, s8, v1, 0
	v_mov_b32_e32 v0, v7
	v_mad_u64_u32 v[14:15], null, s9, v1, v[0:1]
	v_mul_f64 v[0:1], v[4:5], s[2:3]
	v_mov_b32_e32 v7, v14
	v_lshlrev_b64 v[4:5], 4, v[6:7]
	v_add_co_u32 v4, vcc_lo, v20, v4
	v_add_co_ci_u32_e32 v5, vcc_lo, v21, v5, vcc_lo
	v_add_co_u32 v12, vcc_lo, v12, s1
	v_add_co_ci_u32_e32 v13, vcc_lo, s0, v13, vcc_lo
	global_store_dwordx4 v[4:5], v[0:3], off
	global_load_dwordx4 v[0:3], v[232:233], off offset:688
	s_waitcnt vmcnt(0) lgkmcnt(0)
	v_mul_f64 v[4:5], v[10:11], v[2:3]
	v_mul_f64 v[2:3], v[8:9], v[2:3]
	v_fma_f64 v[4:5], v[8:9], v[0:1], v[4:5]
	v_fma_f64 v[2:3], v[0:1], v[10:11], -v[2:3]
	v_mul_f64 v[0:1], v[4:5], s[2:3]
	v_mul_f64 v[2:3], v[2:3], s[2:3]
	global_store_dwordx4 v[12:13], v[0:3], off
	global_load_dwordx4 v[0:3], v[232:233], off offset:928
	ds_read_b128 v[4:7], v249 offset:928
	ds_read_b128 v[8:11], v249 offset:1168
	s_waitcnt vmcnt(0) lgkmcnt(1)
	v_mul_f64 v[14:15], v[6:7], v[2:3]
	v_mul_f64 v[2:3], v[4:5], v[2:3]
	v_fma_f64 v[4:5], v[4:5], v[0:1], v[14:15]
	v_fma_f64 v[2:3], v[0:1], v[6:7], -v[2:3]
	buffer_load_dword v1, off, s[48:51], 0 offset:184 ; 4-byte Folded Reload
	v_mul_f64 v[2:3], v[2:3], s[2:3]
	s_waitcnt vmcnt(0)
	v_mad_u64_u32 v[6:7], null, s8, v1, 0
	v_mov_b32_e32 v0, v7
	v_mad_u64_u32 v[14:15], null, s9, v1, v[0:1]
	v_mul_f64 v[0:1], v[4:5], s[2:3]
	v_mov_b32_e32 v7, v14
	v_lshlrev_b64 v[4:5], 4, v[6:7]
	v_add_co_u32 v4, vcc_lo, v20, v4
	v_add_co_ci_u32_e32 v5, vcc_lo, v21, v5, vcc_lo
	v_add_co_u32 v12, vcc_lo, v12, s1
	v_add_co_ci_u32_e32 v13, vcc_lo, s0, v13, vcc_lo
	global_store_dwordx4 v[4:5], v[0:3], off
	global_load_dwordx4 v[0:3], v[232:233], off offset:1168
	;; [unrolled: 31-line block ×3, first 2 shown]
	s_waitcnt vmcnt(0) lgkmcnt(0)
	v_mul_f64 v[4:5], v[10:11], v[2:3]
	v_mul_f64 v[2:3], v[8:9], v[2:3]
	v_fma_f64 v[4:5], v[8:9], v[0:1], v[4:5]
	v_fma_f64 v[2:3], v[0:1], v[10:11], -v[2:3]
	v_mul_f64 v[0:1], v[4:5], s[2:3]
	v_mul_f64 v[2:3], v[2:3], s[2:3]
	global_store_dwordx4 v[12:13], v[0:3], off
	global_load_dwordx4 v[0:3], v[232:233], off offset:1888
	ds_read_b128 v[4:7], v249 offset:1888
	ds_read_b128 v[8:11], v249 offset:2128
	buffer_load_dword v16, off, s[48:51], 0 offset:172 ; 4-byte Folded Reload
	s_waitcnt vmcnt(1) lgkmcnt(1)
	v_mul_f64 v[14:15], v[6:7], v[2:3]
	v_mul_f64 v[2:3], v[4:5], v[2:3]
	v_fma_f64 v[4:5], v[4:5], v[0:1], v[14:15]
	v_fma_f64 v[2:3], v[0:1], v[6:7], -v[2:3]
	buffer_load_dword v1, off, s[48:51], 0 offset:176 ; 4-byte Folded Reload
	v_mul_f64 v[2:3], v[2:3], s[2:3]
	s_waitcnt vmcnt(0)
	v_mad_u64_u32 v[6:7], null, s8, v1, 0
	v_mov_b32_e32 v0, v7
	v_mad_u64_u32 v[14:15], null, s9, v1, v[0:1]
	v_mul_f64 v[0:1], v[4:5], s[2:3]
	v_mov_b32_e32 v7, v14
	v_lshlrev_b64 v[4:5], 4, v[6:7]
	v_add_co_u32 v4, vcc_lo, v20, v4
	v_add_co_ci_u32_e32 v5, vcc_lo, v21, v5, vcc_lo
	v_add_co_u32 v12, vcc_lo, v12, s1
	v_add_co_ci_u32_e32 v13, vcc_lo, s0, v13, vcc_lo
	global_store_dwordx4 v[4:5], v[0:3], off
	global_load_dwordx4 v[0:3], v[234:235], off offset:80
	s_waitcnt vmcnt(0) lgkmcnt(0)
	v_mul_f64 v[4:5], v[10:11], v[2:3]
	v_mul_f64 v[2:3], v[8:9], v[2:3]
	v_fma_f64 v[4:5], v[8:9], v[0:1], v[4:5]
	v_fma_f64 v[2:3], v[0:1], v[10:11], -v[2:3]
	v_mul_f64 v[0:1], v[4:5], s[2:3]
	v_mul_f64 v[2:3], v[2:3], s[2:3]
	v_lshlrev_b32_e32 v4, 4, v16
	global_store_dwordx4 v[12:13], v[0:3], off
	global_load_dwordx4 v[0:3], v4, s[6:7]
	ds_read_b128 v[4:7], v249 offset:2368
	ds_read_b128 v[8:11], v249 offset:2608
	s_waitcnt vmcnt(0) lgkmcnt(1)
	v_mul_f64 v[14:15], v[6:7], v[2:3]
	v_mul_f64 v[2:3], v[4:5], v[2:3]
	v_fma_f64 v[4:5], v[4:5], v[0:1], v[14:15]
	v_fma_f64 v[2:3], v[0:1], v[6:7], -v[2:3]
	v_mad_u64_u32 v[6:7], null, s8, v16, 0
	v_mov_b32_e32 v0, v7
	v_mad_u64_u32 v[14:15], null, s9, v16, v[0:1]
	buffer_load_dword v16, off, s[48:51], 0 offset:168 ; 4-byte Folded Reload
	v_mul_f64 v[0:1], v[4:5], s[2:3]
	v_mul_f64 v[2:3], v[2:3], s[2:3]
	v_mov_b32_e32 v7, v14
	v_lshlrev_b64 v[4:5], 4, v[6:7]
	v_add_co_u32 v4, vcc_lo, v20, v4
	v_add_co_ci_u32_e32 v5, vcc_lo, v21, v5, vcc_lo
	v_add_co_u32 v12, vcc_lo, v12, s1
	v_add_co_ci_u32_e32 v13, vcc_lo, s0, v13, vcc_lo
	global_store_dwordx4 v[4:5], v[0:3], off
	global_load_dwordx4 v[0:3], v[234:235], off offset:560
	s_waitcnt vmcnt(0) lgkmcnt(0)
	v_mul_f64 v[4:5], v[10:11], v[2:3]
	v_mul_f64 v[2:3], v[8:9], v[2:3]
	v_fma_f64 v[4:5], v[8:9], v[0:1], v[4:5]
	v_fma_f64 v[2:3], v[0:1], v[10:11], -v[2:3]
	v_mul_f64 v[0:1], v[4:5], s[2:3]
	v_mul_f64 v[2:3], v[2:3], s[2:3]
	v_lshlrev_b32_e32 v4, 4, v16
	global_store_dwordx4 v[12:13], v[0:3], off
	global_load_dwordx4 v[0:3], v4, s[6:7]
	ds_read_b128 v[4:7], v249 offset:2848
	ds_read_b128 v[8:11], v249 offset:3088
	s_waitcnt vmcnt(0) lgkmcnt(1)
	v_mul_f64 v[14:15], v[6:7], v[2:3]
	v_mul_f64 v[2:3], v[4:5], v[2:3]
	v_fma_f64 v[4:5], v[4:5], v[0:1], v[14:15]
	v_fma_f64 v[2:3], v[0:1], v[6:7], -v[2:3]
	v_mad_u64_u32 v[6:7], null, s8, v16, 0
	v_mov_b32_e32 v0, v7
	v_mad_u64_u32 v[14:15], null, s9, v16, v[0:1]
	v_mul_f64 v[0:1], v[4:5], s[2:3]
	v_mul_f64 v[2:3], v[2:3], s[2:3]
	v_mov_b32_e32 v7, v14
	v_lshlrev_b64 v[4:5], 4, v[6:7]
	v_add_co_u32 v4, vcc_lo, v20, v4
	v_add_co_ci_u32_e32 v5, vcc_lo, v21, v5, vcc_lo
	global_store_dwordx4 v[4:5], v[0:3], off
	global_load_dwordx4 v[0:3], v[234:235], off offset:1040
	s_waitcnt vmcnt(0) lgkmcnt(0)
	v_mul_f64 v[4:5], v[10:11], v[2:3]
	v_mul_f64 v[2:3], v[8:9], v[2:3]
	v_fma_f64 v[4:5], v[8:9], v[0:1], v[4:5]
	v_fma_f64 v[2:3], v[0:1], v[10:11], -v[2:3]
	v_mul_f64 v[0:1], v[4:5], s[2:3]
	v_mul_f64 v[2:3], v[2:3], s[2:3]
	v_add_co_u32 v4, vcc_lo, v12, s1
	v_add_co_ci_u32_e32 v5, vcc_lo, s0, v13, vcc_lo
	global_store_dwordx4 v[4:5], v[0:3], off
.LBB0_15:
	s_endpgm
	.section	.rodata,"a",@progbits
	.p2align	6, 0x0
	.amdhsa_kernel bluestein_single_back_len195_dim1_dp_op_CI_CI
		.amdhsa_group_segment_fixed_size 12480
		.amdhsa_private_segment_fixed_size 196
		.amdhsa_kernarg_size 104
		.amdhsa_user_sgpr_count 6
		.amdhsa_user_sgpr_private_segment_buffer 1
		.amdhsa_user_sgpr_dispatch_ptr 0
		.amdhsa_user_sgpr_queue_ptr 0
		.amdhsa_user_sgpr_kernarg_segment_ptr 1
		.amdhsa_user_sgpr_dispatch_id 0
		.amdhsa_user_sgpr_flat_scratch_init 0
		.amdhsa_user_sgpr_private_segment_size 0
		.amdhsa_wavefront_size32 1
		.amdhsa_uses_dynamic_stack 0
		.amdhsa_system_sgpr_private_segment_wavefront_offset 1
		.amdhsa_system_sgpr_workgroup_id_x 1
		.amdhsa_system_sgpr_workgroup_id_y 0
		.amdhsa_system_sgpr_workgroup_id_z 0
		.amdhsa_system_sgpr_workgroup_info 0
		.amdhsa_system_vgpr_workitem_id 0
		.amdhsa_next_free_vgpr 256
		.amdhsa_next_free_sgpr 52
		.amdhsa_reserve_vcc 1
		.amdhsa_reserve_flat_scratch 0
		.amdhsa_float_round_mode_32 0
		.amdhsa_float_round_mode_16_64 0
		.amdhsa_float_denorm_mode_32 3
		.amdhsa_float_denorm_mode_16_64 3
		.amdhsa_dx10_clamp 1
		.amdhsa_ieee_mode 1
		.amdhsa_fp16_overflow 0
		.amdhsa_workgroup_processor_mode 1
		.amdhsa_memory_ordered 1
		.amdhsa_forward_progress 0
		.amdhsa_shared_vgpr_count 0
		.amdhsa_exception_fp_ieee_invalid_op 0
		.amdhsa_exception_fp_denorm_src 0
		.amdhsa_exception_fp_ieee_div_zero 0
		.amdhsa_exception_fp_ieee_overflow 0
		.amdhsa_exception_fp_ieee_underflow 0
		.amdhsa_exception_fp_ieee_inexact 0
		.amdhsa_exception_int_div_zero 0
	.end_amdhsa_kernel
	.text
.Lfunc_end0:
	.size	bluestein_single_back_len195_dim1_dp_op_CI_CI, .Lfunc_end0-bluestein_single_back_len195_dim1_dp_op_CI_CI
                                        ; -- End function
	.section	.AMDGPU.csdata,"",@progbits
; Kernel info:
; codeLenInByte = 29412
; NumSgprs: 54
; NumVgprs: 256
; ScratchSize: 196
; MemoryBound: 0
; FloatMode: 240
; IeeeMode: 1
; LDSByteSize: 12480 bytes/workgroup (compile time only)
; SGPRBlocks: 6
; VGPRBlocks: 31
; NumSGPRsForWavesPerEU: 54
; NumVGPRsForWavesPerEU: 256
; Occupancy: 4
; WaveLimiterHint : 1
; COMPUTE_PGM_RSRC2:SCRATCH_EN: 1
; COMPUTE_PGM_RSRC2:USER_SGPR: 6
; COMPUTE_PGM_RSRC2:TRAP_HANDLER: 0
; COMPUTE_PGM_RSRC2:TGID_X_EN: 1
; COMPUTE_PGM_RSRC2:TGID_Y_EN: 0
; COMPUTE_PGM_RSRC2:TGID_Z_EN: 0
; COMPUTE_PGM_RSRC2:TIDIG_COMP_CNT: 0
	.text
	.p2alignl 6, 3214868480
	.fill 48, 4, 3214868480
	.type	__hip_cuid_7b0325d7a8e17c79,@object ; @__hip_cuid_7b0325d7a8e17c79
	.section	.bss,"aw",@nobits
	.globl	__hip_cuid_7b0325d7a8e17c79
__hip_cuid_7b0325d7a8e17c79:
	.byte	0                               ; 0x0
	.size	__hip_cuid_7b0325d7a8e17c79, 1

	.ident	"AMD clang version 19.0.0git (https://github.com/RadeonOpenCompute/llvm-project roc-6.4.0 25133 c7fe45cf4b819c5991fe208aaa96edf142730f1d)"
	.section	".note.GNU-stack","",@progbits
	.addrsig
	.addrsig_sym __hip_cuid_7b0325d7a8e17c79
	.amdgpu_metadata
---
amdhsa.kernels:
  - .args:
      - .actual_access:  read_only
        .address_space:  global
        .offset:         0
        .size:           8
        .value_kind:     global_buffer
      - .actual_access:  read_only
        .address_space:  global
        .offset:         8
        .size:           8
        .value_kind:     global_buffer
      - .actual_access:  read_only
        .address_space:  global
        .offset:         16
        .size:           8
        .value_kind:     global_buffer
      - .actual_access:  read_only
        .address_space:  global
        .offset:         24
        .size:           8
        .value_kind:     global_buffer
      - .actual_access:  read_only
        .address_space:  global
        .offset:         32
        .size:           8
        .value_kind:     global_buffer
      - .offset:         40
        .size:           8
        .value_kind:     by_value
      - .address_space:  global
        .offset:         48
        .size:           8
        .value_kind:     global_buffer
      - .address_space:  global
        .offset:         56
        .size:           8
        .value_kind:     global_buffer
      - .address_space:  global
        .offset:         64
        .size:           8
        .value_kind:     global_buffer
      - .address_space:  global
        .offset:         72
        .size:           8
        .value_kind:     global_buffer
      - .offset:         80
        .size:           4
        .value_kind:     by_value
      - .address_space:  global
        .offset:         88
        .size:           8
        .value_kind:     global_buffer
      - .address_space:  global
        .offset:         96
        .size:           8
        .value_kind:     global_buffer
    .group_segment_fixed_size: 12480
    .kernarg_segment_align: 8
    .kernarg_segment_size: 104
    .language:       OpenCL C
    .language_version:
      - 2
      - 0
    .max_flat_workgroup_size: 52
    .name:           bluestein_single_back_len195_dim1_dp_op_CI_CI
    .private_segment_fixed_size: 196
    .sgpr_count:     54
    .sgpr_spill_count: 0
    .symbol:         bluestein_single_back_len195_dim1_dp_op_CI_CI.kd
    .uniform_work_group_size: 1
    .uses_dynamic_stack: false
    .vgpr_count:     256
    .vgpr_spill_count: 48
    .wavefront_size: 32
    .workgroup_processor_mode: 1
amdhsa.target:   amdgcn-amd-amdhsa--gfx1030
amdhsa.version:
  - 1
  - 2
...

	.end_amdgpu_metadata
